;; amdgpu-corpus repo=ROCm/rocFFT kind=compiled arch=gfx1201 opt=O3
	.text
	.amdgcn_target "amdgcn-amd-amdhsa--gfx1201"
	.amdhsa_code_object_version 6
	.protected	fft_rtc_fwd_len833_factors_17_7_7_wgs_119_tpt_119_halfLds_dp_op_CI_CI_sbrr_dirReg ; -- Begin function fft_rtc_fwd_len833_factors_17_7_7_wgs_119_tpt_119_halfLds_dp_op_CI_CI_sbrr_dirReg
	.globl	fft_rtc_fwd_len833_factors_17_7_7_wgs_119_tpt_119_halfLds_dp_op_CI_CI_sbrr_dirReg
	.p2align	8
	.type	fft_rtc_fwd_len833_factors_17_7_7_wgs_119_tpt_119_halfLds_dp_op_CI_CI_sbrr_dirReg,@function
fft_rtc_fwd_len833_factors_17_7_7_wgs_119_tpt_119_halfLds_dp_op_CI_CI_sbrr_dirReg: ; @fft_rtc_fwd_len833_factors_17_7_7_wgs_119_tpt_119_halfLds_dp_op_CI_CI_sbrr_dirReg
; %bb.0:
	s_clause 0x2
	s_load_b128 s[12:15], s[0:1], 0x18
	s_load_b128 s[8:11], s[0:1], 0x0
	;; [unrolled: 1-line block ×3, first 2 shown]
	v_mul_u32_u24_e32 v1, 0x227, v0
	v_mov_b32_e32 v68, 0
	v_mov_b32_e32 v69, 0
	s_wait_kmcnt 0x0
	s_load_b64 s[18:19], s[12:13], 0x0
	s_load_b64 s[16:17], s[14:15], 0x0
	v_lshrrev_b32_e32 v2, 16, v1
	v_mov_b32_e32 v1, 0
	v_cmp_lt_u64_e64 s2, s[10:11], 2
	s_delay_alu instid0(VALU_DEP_2) | instskip(NEXT) | instid1(VALU_DEP_2)
	v_dual_mov_b32 v4, v1 :: v_dual_add_nc_u32 v3, ttmp9, v2
	s_and_b32 vcc_lo, exec_lo, s2
	s_cbranch_vccnz .LBB0_8
; %bb.1:
	s_load_b64 s[2:3], s[0:1], 0x10
	v_mov_b32_e32 v68, 0
	v_mov_b32_e32 v69, 0
	s_add_nc_u64 s[20:21], s[14:15], 8
	s_add_nc_u64 s[22:23], s[12:13], 8
	s_mov_b64 s[24:25], 1
	s_delay_alu instid0(VALU_DEP_1)
	v_dual_mov_b32 v81, v69 :: v_dual_mov_b32 v80, v68
	s_wait_kmcnt 0x0
	s_add_nc_u64 s[26:27], s[2:3], 8
	s_mov_b32 s3, 0
.LBB0_2:                                ; =>This Inner Loop Header: Depth=1
	s_load_b64 s[28:29], s[26:27], 0x0
                                        ; implicit-def: $vgpr82_vgpr83
	s_mov_b32 s2, exec_lo
	s_wait_kmcnt 0x0
	v_or_b32_e32 v2, s29, v4
	s_delay_alu instid0(VALU_DEP_1)
	v_cmpx_ne_u64_e32 0, v[1:2]
	s_wait_alu 0xfffe
	s_xor_b32 s30, exec_lo, s2
	s_cbranch_execz .LBB0_4
; %bb.3:                                ;   in Loop: Header=BB0_2 Depth=1
	s_cvt_f32_u32 s2, s28
	s_cvt_f32_u32 s31, s29
	s_sub_nc_u64 s[36:37], 0, s[28:29]
	s_wait_alu 0xfffe
	s_delay_alu instid0(SALU_CYCLE_1) | instskip(SKIP_1) | instid1(SALU_CYCLE_2)
	s_fmamk_f32 s2, s31, 0x4f800000, s2
	s_wait_alu 0xfffe
	v_s_rcp_f32 s2, s2
	s_delay_alu instid0(TRANS32_DEP_1) | instskip(SKIP_1) | instid1(SALU_CYCLE_2)
	s_mul_f32 s2, s2, 0x5f7ffffc
	s_wait_alu 0xfffe
	s_mul_f32 s31, s2, 0x2f800000
	s_wait_alu 0xfffe
	s_delay_alu instid0(SALU_CYCLE_2) | instskip(SKIP_1) | instid1(SALU_CYCLE_2)
	s_trunc_f32 s31, s31
	s_wait_alu 0xfffe
	s_fmamk_f32 s2, s31, 0xcf800000, s2
	s_cvt_u32_f32 s35, s31
	s_wait_alu 0xfffe
	s_delay_alu instid0(SALU_CYCLE_1) | instskip(SKIP_1) | instid1(SALU_CYCLE_2)
	s_cvt_u32_f32 s34, s2
	s_wait_alu 0xfffe
	s_mul_u64 s[38:39], s[36:37], s[34:35]
	s_wait_alu 0xfffe
	s_mul_hi_u32 s41, s34, s39
	s_mul_i32 s40, s34, s39
	s_mul_hi_u32 s2, s34, s38
	s_mul_i32 s33, s35, s38
	s_wait_alu 0xfffe
	s_add_nc_u64 s[40:41], s[2:3], s[40:41]
	s_mul_hi_u32 s31, s35, s38
	s_mul_hi_u32 s42, s35, s39
	s_add_co_u32 s2, s40, s33
	s_wait_alu 0xfffe
	s_add_co_ci_u32 s2, s41, s31
	s_mul_i32 s38, s35, s39
	s_add_co_ci_u32 s39, s42, 0
	s_wait_alu 0xfffe
	s_add_nc_u64 s[38:39], s[2:3], s[38:39]
	s_wait_alu 0xfffe
	v_add_co_u32 v2, s2, s34, s38
	s_delay_alu instid0(VALU_DEP_1) | instskip(SKIP_1) | instid1(VALU_DEP_1)
	s_cmp_lg_u32 s2, 0
	s_add_co_ci_u32 s35, s35, s39
	v_readfirstlane_b32 s34, v2
	s_wait_alu 0xfffe
	s_delay_alu instid0(VALU_DEP_1)
	s_mul_u64 s[36:37], s[36:37], s[34:35]
	s_wait_alu 0xfffe
	s_mul_hi_u32 s39, s34, s37
	s_mul_i32 s38, s34, s37
	s_mul_hi_u32 s2, s34, s36
	s_mul_i32 s33, s35, s36
	s_wait_alu 0xfffe
	s_add_nc_u64 s[38:39], s[2:3], s[38:39]
	s_mul_hi_u32 s31, s35, s36
	s_mul_hi_u32 s34, s35, s37
	s_wait_alu 0xfffe
	s_add_co_u32 s2, s38, s33
	s_add_co_ci_u32 s2, s39, s31
	s_mul_i32 s36, s35, s37
	s_add_co_ci_u32 s37, s34, 0
	s_wait_alu 0xfffe
	s_add_nc_u64 s[36:37], s[2:3], s[36:37]
	s_wait_alu 0xfffe
	v_add_co_u32 v2, s2, v2, s36
	s_delay_alu instid0(VALU_DEP_1) | instskip(SKIP_1) | instid1(VALU_DEP_1)
	s_cmp_lg_u32 s2, 0
	s_add_co_ci_u32 s2, s35, s37
	v_mul_hi_u32 v11, v3, v2
	s_wait_alu 0xfffe
	v_mad_co_u64_u32 v[5:6], null, v3, s2, 0
	v_mad_co_u64_u32 v[7:8], null, v4, v2, 0
	;; [unrolled: 1-line block ×3, first 2 shown]
	s_delay_alu instid0(VALU_DEP_3) | instskip(SKIP_1) | instid1(VALU_DEP_4)
	v_add_co_u32 v2, vcc_lo, v11, v5
	s_wait_alu 0xfffd
	v_add_co_ci_u32_e32 v5, vcc_lo, 0, v6, vcc_lo
	s_delay_alu instid0(VALU_DEP_2) | instskip(SKIP_1) | instid1(VALU_DEP_2)
	v_add_co_u32 v2, vcc_lo, v2, v7
	s_wait_alu 0xfffd
	v_add_co_ci_u32_e32 v2, vcc_lo, v5, v8, vcc_lo
	s_wait_alu 0xfffd
	v_add_co_ci_u32_e32 v5, vcc_lo, 0, v10, vcc_lo
	s_delay_alu instid0(VALU_DEP_2) | instskip(SKIP_1) | instid1(VALU_DEP_2)
	v_add_co_u32 v2, vcc_lo, v2, v9
	s_wait_alu 0xfffd
	v_add_co_ci_u32_e32 v7, vcc_lo, 0, v5, vcc_lo
	s_delay_alu instid0(VALU_DEP_2) | instskip(SKIP_1) | instid1(VALU_DEP_3)
	v_mul_lo_u32 v8, s29, v2
	v_mad_co_u64_u32 v[5:6], null, s28, v2, 0
	v_mul_lo_u32 v9, s28, v7
	s_delay_alu instid0(VALU_DEP_2) | instskip(NEXT) | instid1(VALU_DEP_2)
	v_sub_co_u32 v5, vcc_lo, v3, v5
	v_add3_u32 v6, v6, v9, v8
	s_delay_alu instid0(VALU_DEP_1) | instskip(SKIP_1) | instid1(VALU_DEP_1)
	v_sub_nc_u32_e32 v8, v4, v6
	s_wait_alu 0xfffd
	v_subrev_co_ci_u32_e64 v8, s2, s29, v8, vcc_lo
	v_add_co_u32 v9, s2, v2, 2
	s_wait_alu 0xf1ff
	v_add_co_ci_u32_e64 v10, s2, 0, v7, s2
	v_sub_co_u32 v11, s2, v5, s28
	v_sub_co_ci_u32_e32 v6, vcc_lo, v4, v6, vcc_lo
	s_wait_alu 0xf1ff
	v_subrev_co_ci_u32_e64 v8, s2, 0, v8, s2
	s_delay_alu instid0(VALU_DEP_3) | instskip(NEXT) | instid1(VALU_DEP_3)
	v_cmp_le_u32_e32 vcc_lo, s28, v11
	v_cmp_eq_u32_e64 s2, s29, v6
	s_wait_alu 0xfffd
	v_cndmask_b32_e64 v11, 0, -1, vcc_lo
	v_cmp_le_u32_e32 vcc_lo, s29, v8
	s_wait_alu 0xfffd
	v_cndmask_b32_e64 v12, 0, -1, vcc_lo
	v_cmp_le_u32_e32 vcc_lo, s28, v5
	;; [unrolled: 3-line block ×3, first 2 shown]
	s_wait_alu 0xfffd
	v_cndmask_b32_e64 v13, 0, -1, vcc_lo
	v_cmp_eq_u32_e32 vcc_lo, s29, v8
	s_wait_alu 0xf1ff
	s_delay_alu instid0(VALU_DEP_2)
	v_cndmask_b32_e64 v5, v13, v5, s2
	s_wait_alu 0xfffd
	v_cndmask_b32_e32 v8, v12, v11, vcc_lo
	v_add_co_u32 v11, vcc_lo, v2, 1
	s_wait_alu 0xfffd
	v_add_co_ci_u32_e32 v12, vcc_lo, 0, v7, vcc_lo
	s_delay_alu instid0(VALU_DEP_3) | instskip(SKIP_1) | instid1(VALU_DEP_2)
	v_cmp_ne_u32_e32 vcc_lo, 0, v8
	s_wait_alu 0xfffd
	v_cndmask_b32_e32 v6, v12, v10, vcc_lo
	v_cndmask_b32_e32 v8, v11, v9, vcc_lo
	v_cmp_ne_u32_e32 vcc_lo, 0, v5
	s_wait_alu 0xfffd
	s_delay_alu instid0(VALU_DEP_2)
	v_dual_cndmask_b32 v83, v7, v6 :: v_dual_cndmask_b32 v82, v2, v8
.LBB0_4:                                ;   in Loop: Header=BB0_2 Depth=1
	s_wait_alu 0xfffe
	s_and_not1_saveexec_b32 s2, s30
	s_cbranch_execz .LBB0_6
; %bb.5:                                ;   in Loop: Header=BB0_2 Depth=1
	v_cvt_f32_u32_e32 v2, s28
	s_sub_co_i32 s30, 0, s28
	v_mov_b32_e32 v83, v1
	s_delay_alu instid0(VALU_DEP_2) | instskip(NEXT) | instid1(TRANS32_DEP_1)
	v_rcp_iflag_f32_e32 v2, v2
	v_mul_f32_e32 v2, 0x4f7ffffe, v2
	s_delay_alu instid0(VALU_DEP_1) | instskip(SKIP_1) | instid1(VALU_DEP_1)
	v_cvt_u32_f32_e32 v2, v2
	s_wait_alu 0xfffe
	v_mul_lo_u32 v5, s30, v2
	s_delay_alu instid0(VALU_DEP_1) | instskip(NEXT) | instid1(VALU_DEP_1)
	v_mul_hi_u32 v5, v2, v5
	v_add_nc_u32_e32 v2, v2, v5
	s_delay_alu instid0(VALU_DEP_1) | instskip(NEXT) | instid1(VALU_DEP_1)
	v_mul_hi_u32 v2, v3, v2
	v_mul_lo_u32 v5, v2, s28
	v_add_nc_u32_e32 v6, 1, v2
	s_delay_alu instid0(VALU_DEP_2) | instskip(NEXT) | instid1(VALU_DEP_1)
	v_sub_nc_u32_e32 v5, v3, v5
	v_subrev_nc_u32_e32 v7, s28, v5
	v_cmp_le_u32_e32 vcc_lo, s28, v5
	s_wait_alu 0xfffd
	s_delay_alu instid0(VALU_DEP_2) | instskip(NEXT) | instid1(VALU_DEP_1)
	v_dual_cndmask_b32 v5, v5, v7 :: v_dual_cndmask_b32 v2, v2, v6
	v_cmp_le_u32_e32 vcc_lo, s28, v5
	s_delay_alu instid0(VALU_DEP_2) | instskip(SKIP_1) | instid1(VALU_DEP_1)
	v_add_nc_u32_e32 v6, 1, v2
	s_wait_alu 0xfffd
	v_cndmask_b32_e32 v82, v2, v6, vcc_lo
.LBB0_6:                                ;   in Loop: Header=BB0_2 Depth=1
	s_wait_alu 0xfffe
	s_or_b32 exec_lo, exec_lo, s2
	v_mul_lo_u32 v2, v83, s28
	s_delay_alu instid0(VALU_DEP_2)
	v_mul_lo_u32 v7, v82, s29
	s_load_b64 s[30:31], s[22:23], 0x0
	v_mad_co_u64_u32 v[5:6], null, v82, s28, 0
	s_load_b64 s[28:29], s[20:21], 0x0
	s_add_nc_u64 s[24:25], s[24:25], 1
	s_add_nc_u64 s[20:21], s[20:21], 8
	s_wait_alu 0xfffe
	v_cmp_ge_u64_e64 s2, s[24:25], s[10:11]
	s_add_nc_u64 s[22:23], s[22:23], 8
	s_add_nc_u64 s[26:27], s[26:27], 8
	v_add3_u32 v2, v6, v7, v2
	v_sub_co_u32 v3, vcc_lo, v3, v5
	s_wait_alu 0xfffd
	s_delay_alu instid0(VALU_DEP_2) | instskip(SKIP_2) | instid1(VALU_DEP_1)
	v_sub_co_ci_u32_e32 v2, vcc_lo, v4, v2, vcc_lo
	s_and_b32 vcc_lo, exec_lo, s2
	s_wait_kmcnt 0x0
	v_mul_lo_u32 v4, s30, v2
	v_mul_lo_u32 v5, s31, v3
	v_mad_co_u64_u32 v[68:69], null, s30, v3, v[68:69]
	v_mul_lo_u32 v2, s28, v2
	v_mul_lo_u32 v6, s29, v3
	v_mad_co_u64_u32 v[80:81], null, s28, v3, v[80:81]
	s_delay_alu instid0(VALU_DEP_4) | instskip(NEXT) | instid1(VALU_DEP_2)
	v_add3_u32 v69, v5, v69, v4
	v_add3_u32 v81, v6, v81, v2
	s_wait_alu 0xfffe
	s_cbranch_vccnz .LBB0_9
; %bb.7:                                ;   in Loop: Header=BB0_2 Depth=1
	v_dual_mov_b32 v3, v82 :: v_dual_mov_b32 v4, v83
	s_branch .LBB0_2
.LBB0_8:
	v_dual_mov_b32 v81, v69 :: v_dual_mov_b32 v80, v68
	s_delay_alu instid0(VALU_DEP_2)
	v_dual_mov_b32 v83, v4 :: v_dual_mov_b32 v82, v3
.LBB0_9:
	s_load_b64 s[0:1], s[0:1], 0x28
	s_lshl_b64 s[10:11], s[10:11], 3
	v_mul_hi_u32 v1, 0x226b903, v0
	s_wait_alu 0xfffe
	s_add_nc_u64 s[2:3], s[14:15], s[10:11]
	v_mov_b32_e32 v85, 0
	s_load_b64 s[2:3], s[2:3], 0x0
                                        ; implicit-def: $vgpr6_vgpr7
                                        ; implicit-def: $vgpr10_vgpr11
                                        ; implicit-def: $vgpr14_vgpr15
                                        ; implicit-def: $vgpr18_vgpr19
                                        ; implicit-def: $vgpr22_vgpr23
                                        ; implicit-def: $vgpr30_vgpr31
                                        ; implicit-def: $vgpr38_vgpr39
                                        ; implicit-def: $vgpr26_vgpr27
                                        ; implicit-def: $vgpr34_vgpr35
                                        ; implicit-def: $vgpr42_vgpr43
                                        ; implicit-def: $vgpr50_vgpr51
                                        ; implicit-def: $vgpr46_vgpr47
                                        ; implicit-def: $vgpr54_vgpr55
                                        ; implicit-def: $vgpr58_vgpr59
                                        ; implicit-def: $vgpr62_vgpr63
                                        ; implicit-def: $vgpr66_vgpr67
                                        ; implicit-def: $vgpr2_vgpr3
	s_delay_alu instid0(VALU_DEP_2) | instskip(NEXT) | instid1(VALU_DEP_1)
	v_mul_u32_u24_e32 v1, 0x77, v1
	v_sub_nc_u32_e32 v84, v0, v1
	s_wait_kmcnt 0x0
	v_cmp_gt_u64_e32 vcc_lo, s[0:1], v[82:83]
	s_and_saveexec_b32 s1, vcc_lo
	s_cbranch_execz .LBB0_13
; %bb.10:
	s_mov_b32 s14, exec_lo
                                        ; implicit-def: $vgpr0_vgpr1
                                        ; implicit-def: $vgpr64_vgpr65
                                        ; implicit-def: $vgpr60_vgpr61
                                        ; implicit-def: $vgpr56_vgpr57
                                        ; implicit-def: $vgpr52_vgpr53
                                        ; implicit-def: $vgpr44_vgpr45
                                        ; implicit-def: $vgpr48_vgpr49
                                        ; implicit-def: $vgpr40_vgpr41
                                        ; implicit-def: $vgpr32_vgpr33
                                        ; implicit-def: $vgpr24_vgpr25
                                        ; implicit-def: $vgpr36_vgpr37
                                        ; implicit-def: $vgpr28_vgpr29
                                        ; implicit-def: $vgpr20_vgpr21
                                        ; implicit-def: $vgpr16_vgpr17
                                        ; implicit-def: $vgpr12_vgpr13
                                        ; implicit-def: $vgpr8_vgpr9
                                        ; implicit-def: $vgpr4_vgpr5
	v_cmpx_gt_u32_e32 49, v84
	s_cbranch_execz .LBB0_12
; %bb.11:
	s_add_nc_u64 s[10:11], s[12:13], s[10:11]
	v_add_nc_u32_e32 v13, 49, v84
	s_load_b64 s[10:11], s[10:11], 0x0
	v_add_nc_u32_e32 v15, 0x62, v84
	v_mad_co_u64_u32 v[0:1], null, s18, v84, 0
	s_delay_alu instid0(VALU_DEP_3) | instskip(NEXT) | instid1(VALU_DEP_3)
	v_mad_co_u64_u32 v[2:3], null, s18, v13, 0
	v_mad_co_u64_u32 v[4:5], null, s18, v15, 0
	v_add_nc_u32_e32 v20, 0x1b9, v84
	v_add_nc_u32_e32 v23, 0x21b, v84
	s_delay_alu instid0(VALU_DEP_4) | instskip(SKIP_2) | instid1(VALU_DEP_3)
	v_mad_co_u64_u32 v[10:11], null, s19, v84, v[1:2]
	v_add_nc_u32_e32 v16, 0x93, v84
	v_lshlrev_b64_e32 v[11:12], 4, v[68:69]
	v_dual_mov_b32 v1, v10 :: v_dual_add_nc_u32 v68, 0x310, v84
	s_wait_kmcnt 0x0
	v_mul_lo_u32 v14, s11, v82
	v_mul_lo_u32 v17, s10, v83
	v_mad_co_u64_u32 v[6:7], null, s10, v82, 0
	v_lshlrev_b64_e32 v[0:1], 4, v[0:1]
	v_mad_co_u64_u32 v[8:9], null, s18, v16, 0
	s_delay_alu instid0(VALU_DEP_3) | instskip(SKIP_3) | instid1(VALU_DEP_4)
	v_add3_u32 v7, v7, v17, v14
	v_mad_co_u64_u32 v[13:14], null, s19, v13, v[3:4]
	v_add_nc_u32_e32 v18, 0xc4, v84
	v_add_nc_u32_e32 v17, 0x126, v84
	v_lshlrev_b64_e32 v[6:7], 4, v[6:7]
	s_delay_alu instid0(VALU_DEP_4) | instskip(NEXT) | instid1(VALU_DEP_2)
	v_mov_b32_e32 v3, v13
	v_mad_co_u64_u32 v[14:15], null, s19, v15, v[5:6]
	v_add_co_u32 v5, s0, s4, v6
	s_wait_alu 0xf1ff
	s_delay_alu instid0(VALU_DEP_4) | instskip(SKIP_1) | instid1(VALU_DEP_3)
	v_add_co_ci_u32_e64 v6, s0, s5, v7, s0
	v_lshlrev_b64_e32 v[2:3], 4, v[2:3]
	v_add_co_u32 v21, s0, v5, v11
	v_mad_co_u64_u32 v[10:11], null, s18, v18, 0
	s_wait_alu 0xf1ff
	v_add_co_ci_u32_e64 v22, s0, v6, v12, s0
	s_delay_alu instid0(VALU_DEP_3) | instskip(SKIP_2) | instid1(VALU_DEP_3)
	v_add_co_u32 v0, s0, v21, v0
	v_add_nc_u32_e32 v15, 0xf5, v84
	s_wait_alu 0xf1ff
	v_add_co_ci_u32_e64 v1, s0, v22, v1, s0
	v_add_co_u32 v6, s0, v21, v2
	v_mad_co_u64_u32 v[12:13], null, s19, v16, v[9:10]
	s_wait_alu 0xf1ff
	v_add_co_ci_u32_e64 v7, s0, v22, v3, s0
	v_mov_b32_e32 v5, v14
	s_clause 0x1
	global_load_b128 v[0:3], v[0:1], off
	global_load_b128 v[64:67], v[6:7], off
	v_mov_b32_e32 v6, v11
	v_mad_co_u64_u32 v[13:14], null, s18, v15, 0
	v_mov_b32_e32 v9, v12
	s_delay_alu instid0(VALU_DEP_3) | instskip(SKIP_1) | instid1(VALU_DEP_3)
	v_mad_co_u64_u32 v[6:7], null, s19, v18, v[6:7]
	v_add_nc_u32_e32 v18, 0x157, v84
	v_lshlrev_b64_e32 v[8:9], 4, v[8:9]
	v_mov_b32_e32 v7, v14
	v_lshlrev_b64_e32 v[4:5], 4, v[4:5]
	v_mov_b32_e32 v11, v6
	s_delay_alu instid0(VALU_DEP_3) | instskip(NEXT) | instid1(VALU_DEP_3)
	v_mad_co_u64_u32 v[6:7], null, s19, v15, v[7:8]
	v_add_co_u32 v4, s0, v21, v4
	v_mad_co_u64_u32 v[15:16], null, s18, v17, 0
	s_wait_alu 0xf1ff
	v_add_co_ci_u32_e64 v5, s0, v22, v5, s0
	v_add_co_u32 v7, s0, v21, v8
	v_mov_b32_e32 v14, v6
	s_wait_alu 0xf1ff
	v_add_co_ci_u32_e64 v8, s0, v22, v9, s0
	v_lshlrev_b64_e32 v[9:10], 4, v[10:11]
	v_mad_co_u64_u32 v[11:12], null, s18, v18, 0
	v_lshlrev_b64_e32 v[13:14], 4, v[13:14]
	v_mov_b32_e32 v6, v16
	s_delay_alu instid0(VALU_DEP_4) | instskip(SKIP_2) | instid1(VALU_DEP_3)
	v_add_co_u32 v9, s0, v21, v9
	s_wait_alu 0xf1ff
	v_add_co_ci_u32_e64 v10, s0, v22, v10, s0
	v_mad_co_u64_u32 v[16:17], null, s19, v17, v[6:7]
	v_mov_b32_e32 v6, v12
	v_add_co_u32 v12, s0, v21, v13
	s_wait_alu 0xf1ff
	v_add_co_ci_u32_e64 v13, s0, v22, v14, s0
	v_add_nc_u32_e32 v14, 0x188, v84
	v_mad_co_u64_u32 v[17:18], null, s19, v18, v[6:7]
	s_clause 0x3
	global_load_b128 v[60:63], v[4:5], off
	global_load_b128 v[56:59], v[7:8], off
	;; [unrolled: 1-line block ×4, first 2 shown]
	v_mad_co_u64_u32 v[7:8], null, s18, v20, 0
	v_mad_co_u64_u32 v[18:19], null, s18, v14, 0
	v_lshlrev_b64_e32 v[4:5], 4, v[15:16]
	v_mov_b32_e32 v12, v17
	s_delay_alu instid0(VALU_DEP_3) | instskip(NEXT) | instid1(VALU_DEP_2)
	v_mov_b32_e32 v6, v19
	v_lshlrev_b64_e32 v[9:10], 4, v[11:12]
	s_delay_alu instid0(VALU_DEP_4)
	v_add_co_u32 v4, s0, v21, v4
	s_wait_alu 0xf1ff
	v_add_co_ci_u32_e64 v5, s0, v22, v5, s0
	v_mad_co_u64_u32 v[11:12], null, s19, v14, v[6:7]
	v_add_nc_u32_e32 v16, 0x1ea, v84
	v_mov_b32_e32 v6, v8
	v_add_co_u32 v8, s0, v21, v9
	s_wait_alu 0xf1ff
	v_add_co_ci_u32_e64 v9, s0, v22, v10, s0
	v_mov_b32_e32 v19, v11
	v_mad_co_u64_u32 v[12:13], null, s18, v16, 0
	v_mad_co_u64_u32 v[10:11], null, s19, v20, v[6:7]
	v_mad_co_u64_u32 v[14:15], null, s18, v23, 0
	s_clause 0x1
	global_load_b128 v[48:51], v[4:5], off
	global_load_b128 v[40:43], v[8:9], off
	v_lshlrev_b64_e32 v[4:5], 4, v[18:19]
	v_mov_b32_e32 v6, v13
	v_add_nc_u32_e32 v20, 0x2ae, v84
	v_mov_b32_e32 v8, v10
	v_add_nc_u32_e32 v18, 0x27d, v84
	s_delay_alu instid0(VALU_DEP_4) | instskip(NEXT) | instid1(VALU_DEP_3)
	v_mad_co_u64_u32 v[16:17], null, s19, v16, v[6:7]
	v_lshlrev_b64_e32 v[7:8], 4, v[7:8]
	v_mov_b32_e32 v6, v15
	v_add_co_u32 v4, s0, v21, v4
	s_wait_alu 0xf1ff
	v_add_co_ci_u32_e64 v5, s0, v22, v5, s0
	s_delay_alu instid0(VALU_DEP_3)
	v_mad_co_u64_u32 v[9:10], null, s19, v23, v[6:7]
	v_add_co_u32 v6, s0, v21, v7
	s_wait_alu 0xf1ff
	v_add_co_ci_u32_e64 v7, s0, v22, v8, s0
	v_mov_b32_e32 v13, v16
	s_clause 0x1
	global_load_b128 v[32:35], v[4:5], off
	global_load_b128 v[24:27], v[6:7], off
	v_mov_b32_e32 v15, v9
	v_add_nc_u32_e32 v23, 0x2df, v84
	v_lshlrev_b64_e32 v[10:11], 4, v[12:13]
	s_delay_alu instid0(VALU_DEP_3) | instskip(SKIP_2) | instid1(VALU_DEP_4)
	v_lshlrev_b64_e32 v[7:8], 4, v[14:15]
	v_mad_co_u64_u32 v[14:15], null, s18, v20, 0
	v_add_nc_u32_e32 v16, 0x24c, v84
	v_add_co_u32 v4, s0, v21, v10
	s_wait_alu 0xf1ff
	v_add_co_ci_u32_e64 v5, s0, v22, v11, s0
	s_delay_alu instid0(VALU_DEP_3) | instskip(NEXT) | instid1(VALU_DEP_1)
	v_mad_co_u64_u32 v[12:13], null, s18, v16, 0
	v_mov_b32_e32 v6, v13
	s_delay_alu instid0(VALU_DEP_1) | instskip(SKIP_4) | instid1(VALU_DEP_4)
	v_mad_co_u64_u32 v[9:10], null, s19, v16, v[6:7]
	v_mad_co_u64_u32 v[10:11], null, s18, v18, 0
	v_add_co_u32 v6, s0, v21, v7
	s_wait_alu 0xf1ff
	v_add_co_ci_u32_e64 v7, s0, v22, v8, s0
	v_mov_b32_e32 v13, v9
	s_delay_alu instid0(VALU_DEP_4)
	v_dual_mov_b32 v9, v15 :: v_dual_mov_b32 v8, v11
	v_mad_co_u64_u32 v[16:17], null, s18, v23, 0
	s_clause 0x1
	global_load_b128 v[36:39], v[4:5], off
	global_load_b128 v[28:31], v[6:7], off
	v_lshlrev_b64_e32 v[5:6], 4, v[12:13]
	v_mad_co_u64_u32 v[18:19], null, s19, v18, v[8:9]
	v_mad_co_u64_u32 v[8:9], null, s19, v20, v[9:10]
	;; [unrolled: 1-line block ×3, first 2 shown]
	s_delay_alu instid0(VALU_DEP_3) | instskip(NEXT) | instid1(VALU_DEP_3)
	v_dual_mov_b32 v4, v17 :: v_dual_mov_b32 v11, v18
	v_mov_b32_e32 v15, v8
	s_delay_alu instid0(VALU_DEP_2) | instskip(NEXT) | instid1(VALU_DEP_4)
	v_mad_co_u64_u32 v[7:8], null, s19, v23, v[4:5]
	v_mov_b32_e32 v4, v20
	v_add_co_u32 v5, s0, v21, v5
	v_lshlrev_b64_e32 v[8:9], 4, v[10:11]
	s_wait_alu 0xf1ff
	v_add_co_ci_u32_e64 v6, s0, v22, v6, s0
	s_delay_alu instid0(VALU_DEP_3)
	v_mad_co_u64_u32 v[10:11], null, s19, v68, v[4:5]
	v_lshlrev_b64_e32 v[11:12], 4, v[14:15]
	v_mov_b32_e32 v17, v7
	v_add_co_u32 v7, s0, v21, v8
	s_wait_alu 0xf1ff
	v_add_co_ci_u32_e64 v8, s0, v22, v9, s0
	v_mov_b32_e32 v20, v10
	v_lshlrev_b64_e32 v[13:14], 4, v[16:17]
	v_add_co_u32 v9, s0, v21, v11
	s_wait_alu 0xf1ff
	v_add_co_ci_u32_e64 v10, s0, v22, v12, s0
	v_lshlrev_b64_e32 v[11:12], 4, v[19:20]
	s_delay_alu instid0(VALU_DEP_4) | instskip(SKIP_2) | instid1(VALU_DEP_3)
	v_add_co_u32 v68, s0, v21, v13
	s_wait_alu 0xf1ff
	v_add_co_ci_u32_e64 v69, s0, v22, v14, s0
	v_add_co_u32 v70, s0, v21, v11
	s_wait_alu 0xf1ff
	v_add_co_ci_u32_e64 v71, s0, v22, v12, s0
	s_clause 0x4
	global_load_b128 v[20:23], v[5:6], off
	global_load_b128 v[16:19], v[7:8], off
	;; [unrolled: 1-line block ×5, first 2 shown]
.LBB0_12:
	s_or_b32 exec_lo, exec_lo, s14
	v_mov_b32_e32 v85, v84
.LBB0_13:
	s_wait_alu 0xfffe
	s_or_b32 exec_lo, exec_lo, s1
	v_cmp_gt_u32_e64 s0, 49, v84
	s_delay_alu instid0(VALU_DEP_1)
	s_and_saveexec_b32 s1, s0
	s_cbranch_execz .LBB0_15
; %bb.14:
	s_wait_loadcnt 0xf
	v_add_f64_e32 v[68:69], v[64:65], v[0:1]
	s_wait_loadcnt 0x0
	v_add_f64_e64 v[70:71], v[66:67], -v[6:7]
	s_mov_b32 s40, 0x923c349f
	s_mov_b32 s34, 0xeb564b22
	;; [unrolled: 1-line block ×7, first 2 shown]
	s_wait_alu 0xfffe
	s_mov_b32 s44, s34
	s_mov_b32 s27, 0xbfe0d888
	;; [unrolled: 1-line block ×4, first 2 shown]
	v_add_f64_e64 v[72:73], v[62:63], -v[10:11]
	v_add_f64_e32 v[74:75], v[4:5], v[64:65]
	s_mov_b32 s31, 0xbfc7851a
	s_mov_b32 s28, 0x7c9e640b
	;; [unrolled: 1-line block ×8, first 2 shown]
	s_wait_alu 0xfffe
	s_mov_b32 s56, s28
	s_mov_b32 s54, s42
	s_mov_b32 s37, 0x3fd71e95
	s_mov_b32 s47, 0xbfd71e95
	s_mov_b32 s46, s36
	v_add_f64_e64 v[78:79], v[58:59], -v[14:15]
	s_mov_b32 s18, 0xc61f0d01
	s_mov_b32 s20, 0x3259b75e
	;; [unrolled: 1-line block ×9, first 2 shown]
	v_add_f64_e32 v[68:69], v[60:61], v[68:69]
	v_mul_f64_e32 v[94:95], s[40:41], v[70:71]
	v_mul_f64_e32 v[96:97], s[44:45], v[70:71]
	;; [unrolled: 1-line block ×8, first 2 shown]
	s_mov_b32 s13, 0xbfe348c8
	s_mov_b32 s49, 0x3feec746
	;; [unrolled: 1-line block ×4, first 2 shown]
	v_add_f64_e32 v[76:77], v[8:9], v[60:61]
	s_mov_b32 s15, 0xbfef7484
	v_mul_f64_e32 v[110:111], s[52:53], v[72:73]
	v_mul_f64_e32 v[112:113], s[30:31], v[72:73]
	;; [unrolled: 1-line block ×4, first 2 shown]
	s_mov_b32 s10, 0x2b2883cd
	s_mov_b32 s24, 0x75d4884
	s_wait_alu 0xfffe
	v_mul_f64_e32 v[124:125], s[36:37], v[72:73]
	s_mov_b32 s11, 0x3fdc86fa
	s_mov_b32 s22, 0x370991
	;; [unrolled: 1-line block ×6, first 2 shown]
	v_mul_f64_e32 v[152:153], s[38:39], v[72:73]
	v_mul_f64_e32 v[154:155], s[44:45], v[72:73]
	v_add_f64_e32 v[86:87], v[12:13], v[56:57]
	v_mul_f64_e32 v[116:117], s[44:45], v[78:79]
	v_mul_f64_e32 v[118:119], s[46:47], v[78:79]
	;; [unrolled: 1-line block ×7, first 2 shown]
	v_add_f64_e32 v[68:69], v[56:57], v[68:69]
	v_fma_f64 v[144:145], v[74:75], s[18:19], -v[94:95]
	v_fma_f64 v[148:149], v[74:75], s[20:21], -v[96:97]
	;; [unrolled: 1-line block ×4, first 2 shown]
	v_fma_f64 v[150:151], v[74:75], s[14:15], v[100:101]
	v_fma_f64 v[100:101], v[74:75], s[14:15], -v[100:101]
	v_fma_f64 v[90:91], v[74:75], s[4:5], v[90:91]
	v_fma_f64 v[92:93], v[74:75], s[12:13], v[92:93]
	;; [unrolled: 1-line block ×4, first 2 shown]
	s_wait_alu 0xfffe
	v_fma_f64 v[162:163], v[74:75], s[10:11], v[108:109]
	v_fma_f64 v[168:169], v[74:75], s[24:25], v[114:115]
	v_mul_f64_e32 v[78:79], s[56:57], v[78:79]
	v_mul_f64_e32 v[72:73], s[54:55], v[72:73]
	v_fma_f64 v[180:181], v[74:75], s[22:23], -v[70:71]
	v_fma_f64 v[108:109], v[74:75], s[10:11], -v[108:109]
	;; [unrolled: 1-line block ×3, first 2 shown]
	v_fma_f64 v[70:71], v[74:75], s[22:23], v[70:71]
	v_add_f64_e64 v[88:89], v[54:55], -v[18:19]
	v_fma_f64 v[164:165], v[76:77], s[4:5], -v[110:111]
	v_fma_f64 v[166:167], v[76:77], s[14:15], -v[112:113]
	;; [unrolled: 1-line block ×4, first 2 shown]
	v_fma_f64 v[74:75], v[76:77], s[18:19], v[106:107]
	v_fma_f64 v[178:179], v[76:77], s[22:23], v[124:125]
	v_fma_f64 v[124:125], v[76:77], s[22:23], -v[124:125]
	v_fma_f64 v[104:105], v[76:77], s[10:11], v[104:105]
	v_fma_f64 v[110:111], v[76:77], s[4:5], v[110:111]
	;; [unrolled: 1-line block ×5, first 2 shown]
	v_fma_f64 v[170:171], v[86:87], s[20:21], -v[116:117]
	v_fma_f64 v[172:173], v[86:87], s[22:23], -v[118:119]
	v_fma_f64 v[174:175], v[86:87], s[24:25], -v[120:121]
	v_fma_f64 v[176:177], v[86:87], s[18:19], -v[122:123]
	v_fma_f64 v[116:117], v[86:87], s[20:21], v[116:117]
	v_fma_f64 v[118:119], v[86:87], s[22:23], v[118:119]
	v_add_f64_e32 v[68:69], v[52:53], v[68:69]
	v_add_f64_e32 v[144:145], v[0:1], v[144:145]
	;; [unrolled: 1-line block ×13, first 2 shown]
	v_fma_f64 v[134:135], v[86:87], s[4:5], v[136:137]
	v_fma_f64 v[136:137], v[86:87], s[4:5], -v[136:137]
	v_fma_f64 v[120:121], v[86:87], s[24:25], v[120:121]
	v_fma_f64 v[122:123], v[86:87], s[18:19], v[122:123]
	;; [unrolled: 1-line block ×3, first 2 shown]
	v_fma_f64 v[142:143], v[86:87], s[14:15], -v[142:143]
	v_fma_f64 v[188:189], v[86:87], s[12:13], v[146:147]
	v_fma_f64 v[146:147], v[86:87], s[12:13], -v[146:147]
	v_fma_f64 v[190:191], v[86:87], s[10:11], v[78:79]
	v_fma_f64 v[78:79], v[86:87], s[10:11], -v[78:79]
	v_fma_f64 v[86:87], v[76:77], s[20:21], -v[154:155]
	;; [unrolled: 1-line block ×3, first 2 shown]
	v_add_f64_e32 v[180:181], v[0:1], v[180:181]
	v_fma_f64 v[152:153], v[76:77], s[12:13], -v[152:153]
	v_add_f64_e32 v[108:109], v[0:1], v[108:109]
	v_fma_f64 v[72:73], v[76:77], s[24:25], v[72:73]
	v_add_f64_e32 v[76:77], v[0:1], v[114:115]
	v_add_f64_e32 v[0:1], v[0:1], v[70:71]
	s_mov_b32 s51, 0x3fe9895b
	s_mov_b32 s50, s38
	v_add_f64_e32 v[98:99], v[16:17], v[52:53]
	v_add_f64_e64 v[102:103], v[46:47], -v[22:23]
	v_mul_f64_e32 v[130:131], s[56:57], v[88:89]
	v_mul_f64_e32 v[132:133], s[36:37], v[88:89]
	;; [unrolled: 1-line block ×3, first 2 shown]
	v_add_f64_e32 v[68:69], v[44:45], v[68:69]
	v_add_f64_e32 v[144:145], v[164:165], v[144:145]
	;; [unrolled: 1-line block ×3, first 2 shown]
	v_mul_f64_e32 v[128:129], s[26:27], v[88:89]
	v_add_f64_e32 v[106:107], v[158:159], v[106:107]
	v_add_f64_e32 v[140:141], v[160:161], v[140:141]
	v_mul_f64_e32 v[138:139], s[42:43], v[88:89]
	v_add_f64_e32 v[150:151], v[178:179], v[150:151]
	v_add_f64_e32 v[100:101], v[124:125], v[100:101]
	;; [unrolled: 1-line block ×6, first 2 shown]
	v_mul_f64_e32 v[156:157], s[48:49], v[88:89]
	v_mul_f64_e32 v[70:71], s[30:31], v[88:89]
	;; [unrolled: 1-line block ×3, first 2 shown]
	v_add_f64_e32 v[162:163], v[184:185], v[162:163]
	v_add_f64_e32 v[168:169], v[186:187], v[168:169]
	;; [unrolled: 1-line block ×3, first 2 shown]
	v_add_f64_e64 v[158:159], v[50:51], -v[30:31]
	v_add_f64_e32 v[154:155], v[154:155], v[180:181]
	v_add_f64_e32 v[108:109], v[152:153], v[108:109]
	;; [unrolled: 1-line block ×4, first 2 shown]
	v_mul_f64_e32 v[166:167], s[30:31], v[102:103]
	v_mul_f64_e32 v[124:125], s[56:57], v[102:103]
	v_fma_f64 v[178:179], v[98:99], s[10:11], -v[130:131]
	v_fma_f64 v[152:153], v[98:99], s[22:23], -v[132:133]
	v_add_f64_e32 v[68:69], v[48:49], v[68:69]
	v_add_f64_e32 v[144:145], v[174:175], v[144:145]
	;; [unrolled: 1-line block ×3, first 2 shown]
	v_mul_f64_e32 v[160:161], s[46:47], v[102:103]
	v_mul_f64_e32 v[164:165], s[34:35], v[102:103]
	v_fma_f64 v[110:111], v[98:99], s[12:13], -v[126:127]
	v_fma_f64 v[112:113], v[98:99], s[4:5], -v[128:129]
	v_add_f64_e32 v[106:107], v[170:171], v[106:107]
	v_add_f64_e32 v[140:141], v[172:173], v[140:141]
	v_mul_f64_e32 v[104:105], s[38:39], v[102:103]
	v_fma_f64 v[184:185], v[98:99], s[24:25], v[138:139]
	v_fma_f64 v[138:139], v[98:99], s[24:25], -v[138:139]
	v_add_f64_e32 v[134:135], v[134:135], v[150:151]
	v_add_f64_e32 v[100:101], v[136:137], v[100:101]
	v_fma_f64 v[126:127], v[98:99], s[12:13], v[126:127]
	v_fma_f64 v[128:129], v[98:99], s[4:5], v[128:129]
	v_add_f64_e32 v[90:91], v[116:117], v[90:91]
	v_add_f64_e32 v[74:75], v[118:119], v[74:75]
	v_fma_f64 v[130:131], v[98:99], s[10:11], v[130:131]
	v_fma_f64 v[132:133], v[98:99], s[22:23], v[132:133]
	v_add_f64_e32 v[94:95], v[120:121], v[94:95]
	v_add_f64_e32 v[96:97], v[122:123], v[96:97]
	v_mul_f64_e32 v[92:93], s[42:43], v[102:103]
	v_fma_f64 v[180:181], v[98:99], s[18:19], v[156:157]
	v_fma_f64 v[72:73], v[98:99], s[18:19], -v[156:157]
	v_fma_f64 v[86:87], v[98:99], s[14:15], v[70:71]
	v_fma_f64 v[70:71], v[98:99], s[14:15], -v[70:71]
	v_fma_f64 v[156:157], v[98:99], s[20:21], v[88:89]
	v_fma_f64 v[88:89], v[98:99], s[20:21], -v[88:89]
	v_mul_f64_e32 v[98:99], s[52:53], v[102:103]
	v_mul_f64_e32 v[102:103], s[40:41], v[102:103]
	v_add_f64_e32 v[162:163], v[182:183], v[162:163]
	v_add_f64_e32 v[168:169], v[188:189], v[168:169]
	;; [unrolled: 1-line block ×8, first 2 shown]
	v_add_f64_e64 v[172:173], v[42:43], -v[38:39]
	v_mul_f64_e32 v[150:151], s[34:35], v[158:159]
	v_mul_f64_e32 v[136:137], s[26:27], v[158:159]
	v_fma_f64 v[182:183], v[114:115], s[14:15], -v[166:167]
	v_fma_f64 v[142:143], v[114:115], s[10:11], -v[124:125]
	v_add_f64_e32 v[144:145], v[178:179], v[144:145]
	v_add_f64_e32 v[148:149], v[152:153], v[148:149]
	v_mul_f64_e32 v[174:175], s[30:31], v[158:159]
	v_mul_f64_e32 v[176:177], s[54:55], v[158:159]
	v_fma_f64 v[120:121], v[114:115], s[22:23], -v[160:161]
	v_fma_f64 v[122:123], v[114:115], s[20:21], -v[164:165]
	v_add_f64_e32 v[106:107], v[110:111], v[106:107]
	v_add_f64_e32 v[112:113], v[112:113], v[140:141]
	v_mul_f64_e32 v[116:117], s[28:29], v[158:159]
	v_fma_f64 v[186:187], v[114:115], s[12:13], v[104:105]
	v_fma_f64 v[104:105], v[114:115], s[12:13], -v[104:105]
	v_add_f64_e32 v[134:135], v[184:185], v[134:135]
	v_add_f64_e32 v[100:101], v[138:139], v[100:101]
	v_fma_f64 v[146:147], v[114:115], s[22:23], v[160:161]
	v_fma_f64 v[154:155], v[114:115], s[20:21], v[164:165]
	v_add_f64_e32 v[90:91], v[126:127], v[90:91]
	v_add_f64_e32 v[74:75], v[128:129], v[74:75]
	v_fma_f64 v[160:161], v[114:115], s[14:15], v[166:167]
	v_fma_f64 v[124:125], v[114:115], s[10:11], v[124:125]
	v_add_f64_e32 v[94:95], v[130:131], v[94:95]
	v_add_f64_e32 v[96:97], v[132:133], v[96:97]
	v_mul_f64_e32 v[118:119], s[46:47], v[158:159]
	v_fma_f64 v[164:165], v[114:115], s[24:25], v[92:93]
	v_fma_f64 v[92:93], v[114:115], s[24:25], -v[92:93]
	v_fma_f64 v[166:167], v[114:115], s[4:5], v[98:99]
	v_fma_f64 v[98:99], v[114:115], s[4:5], -v[98:99]
	;; [unrolled: 2-line block ×3, first 2 shown]
	v_mul_f64_e32 v[114:115], s[48:49], v[158:159]
	v_mul_f64_e32 v[158:159], s[38:39], v[158:159]
	v_add_f64_e32 v[132:133], v[180:181], v[162:163]
	v_add_f64_e32 v[86:87], v[86:87], v[168:169]
	;; [unrolled: 1-line block ×8, first 2 shown]
	v_add_f64_e64 v[140:141], v[34:35], -v[26:27]
	v_mul_f64_e32 v[138:139], s[46:47], v[172:173]
	v_mul_f64_e32 v[126:127], s[50:51], v[172:173]
	v_fma_f64 v[88:89], v[170:171], s[20:21], -v[150:151]
	v_fma_f64 v[108:109], v[170:171], s[4:5], -v[136:137]
	v_add_f64_e32 v[144:145], v[182:183], v[144:145]
	v_add_f64_e32 v[142:143], v[142:143], v[148:149]
	v_mul_f64_e32 v[152:153], s[42:43], v[172:173]
	v_mul_f64_e32 v[184:185], s[30:31], v[172:173]
	v_fma_f64 v[130:131], v[170:171], s[14:15], -v[174:175]
	v_fma_f64 v[76:77], v[170:171], s[24:25], -v[176:177]
	v_add_f64_e32 v[106:107], v[120:121], v[106:107]
	v_add_f64_e32 v[112:113], v[122:123], v[112:113]
	v_mul_f64_e32 v[128:129], s[40:41], v[172:173]
	v_fma_f64 v[156:157], v[170:171], s[10:11], v[116:117]
	v_fma_f64 v[116:117], v[170:171], s[10:11], -v[116:117]
	v_add_f64_e32 v[134:135], v[186:187], v[134:135]
	v_add_f64_e32 v[100:101], v[104:105], v[100:101]
	v_fma_f64 v[162:163], v[170:171], s[14:15], v[174:175]
	v_fma_f64 v[168:169], v[170:171], s[24:25], v[176:177]
	v_add_f64_e32 v[90:91], v[146:147], v[90:91]
	v_add_f64_e32 v[74:75], v[154:155], v[74:75]
	v_fma_f64 v[150:151], v[170:171], s[20:21], v[150:151]
	v_fma_f64 v[136:137], v[170:171], s[4:5], v[136:137]
	v_add_f64_e32 v[94:95], v[160:161], v[94:95]
	v_add_f64_e32 v[96:97], v[124:125], v[96:97]
	v_fma_f64 v[174:175], v[170:171], s[22:23], v[118:119]
	v_fma_f64 v[118:119], v[170:171], s[22:23], -v[118:119]
	v_fma_f64 v[176:177], v[170:171], s[18:19], v[114:115]
	v_fma_f64 v[114:115], v[170:171], s[18:19], -v[114:115]
	;; [unrolled: 2-line block ×3, first 2 shown]
	v_add_f64_e32 v[68:69], v[24:25], v[68:69]
	v_mul_f64_e32 v[170:171], s[44:45], v[172:173]
	v_mul_f64_e32 v[120:121], s[28:29], v[172:173]
	v_add_f64_e32 v[104:105], v[164:165], v[132:133]
	v_add_f64_e32 v[86:87], v[166:167], v[86:87]
	v_mul_f64_e32 v[172:173], s[26:27], v[172:173]
	v_add_f64_e32 v[78:79], v[102:103], v[78:79]
	v_add_f64_e32 v[72:73], v[92:93], v[72:73]
	;; [unrolled: 1-line block ×5, first 2 shown]
	v_mul_f64_e32 v[182:183], s[38:39], v[140:141]
	v_mul_f64_e32 v[148:149], s[42:43], v[140:141]
	v_fma_f64 v[154:155], v[110:111], s[22:23], -v[138:139]
	v_fma_f64 v[160:161], v[110:111], s[12:13], -v[126:127]
	v_add_f64_e32 v[88:89], v[88:89], v[144:145]
	v_add_f64_e32 v[108:109], v[108:109], v[142:143]
	v_mul_f64_e32 v[122:123], s[40:41], v[140:141]
	v_mul_f64_e32 v[92:93], s[28:29], v[140:141]
	v_mul_f64_e32 v[98:99], s[34:35], v[140:141]
	v_mul_f64_e32 v[102:103], s[26:27], v[140:141]
	v_mul_f64_e32 v[124:125], s[36:37], v[140:141]
	v_mul_f64_e32 v[132:133], s[30:31], v[140:141]
	v_fma_f64 v[140:141], v[110:111], s[24:25], -v[152:153]
	v_fma_f64 v[146:147], v[110:111], s[14:15], -v[184:185]
	v_add_f64_e32 v[106:107], v[130:131], v[106:107]
	v_add_f64_e32 v[76:77], v[76:77], v[112:113]
	v_fma_f64 v[164:165], v[110:111], s[18:19], v[128:129]
	v_fma_f64 v[128:129], v[110:111], s[18:19], -v[128:129]
	v_add_f64_e32 v[112:113], v[156:157], v[134:135]
	v_add_f64_e32 v[100:101], v[116:117], v[100:101]
	v_fma_f64 v[152:153], v[110:111], s[24:25], v[152:153]
	v_fma_f64 v[166:167], v[110:111], s[14:15], v[184:185]
	v_add_f64_e32 v[90:91], v[162:163], v[90:91]
	v_add_f64_e32 v[74:75], v[168:169], v[74:75]
	v_fma_f64 v[138:139], v[110:111], s[22:23], v[138:139]
	v_fma_f64 v[126:127], v[110:111], s[12:13], v[126:127]
	v_add_f64_e32 v[94:95], v[150:151], v[94:95]
	v_add_f64_e32 v[68:69], v[36:37], v[68:69]
	;; [unrolled: 1-line block ×3, first 2 shown]
	v_fma_f64 v[184:185], v[110:111], s[20:21], v[170:171]
	v_fma_f64 v[186:187], v[110:111], s[10:11], v[120:121]
	v_add_f64_e32 v[104:105], v[174:175], v[104:105]
	v_add_f64_e32 v[86:87], v[176:177], v[86:87]
	v_fma_f64 v[170:171], v[110:111], s[20:21], -v[170:171]
	v_fma_f64 v[120:121], v[110:111], s[10:11], -v[120:121]
	v_fma_f64 v[188:189], v[110:111], s[4:5], v[172:173]
	v_fma_f64 v[110:111], v[110:111], s[4:5], -v[172:173]
	v_add_f64_e32 v[78:79], v[158:159], v[78:79]
	v_add_f64_e32 v[72:73], v[118:119], v[72:73]
	v_add_f64_e32 v[70:71], v[114:115], v[70:71]
	v_add_f64_e32 v[0:1], v[180:181], v[0:1]
	v_fma_f64 v[116:117], v[178:179], s[12:13], -v[182:183]
	v_fma_f64 v[118:119], v[178:179], s[24:25], -v[148:149]
	v_add_f64_e32 v[88:89], v[154:155], v[88:89]
	v_add_f64_e32 v[108:109], v[160:161], v[108:109]
	v_fma_f64 v[114:115], v[178:179], s[18:19], -v[122:123]
	v_fma_f64 v[130:131], v[178:179], s[10:11], -v[92:93]
	v_fma_f64 v[134:135], v[178:179], s[20:21], v[98:99]
	v_fma_f64 v[98:99], v[178:179], s[20:21], -v[98:99]
	v_fma_f64 v[122:123], v[178:179], s[18:19], v[122:123]
	v_fma_f64 v[92:93], v[178:179], s[10:11], v[92:93]
	;; [unrolled: 1-line block ×3, first 2 shown]
	v_add_f64_e32 v[106:107], v[140:141], v[106:107]
	v_add_f64_e32 v[76:77], v[146:147], v[76:77]
	v_fma_f64 v[142:143], v[178:179], s[24:25], v[148:149]
	v_fma_f64 v[144:145], v[178:179], s[4:5], v[102:103]
	v_add_f64_e32 v[112:113], v[164:165], v[112:113]
	v_add_f64_e32 v[100:101], v[128:129], v[100:101]
	v_fma_f64 v[148:149], v[178:179], s[22:23], v[124:125]
	v_fma_f64 v[150:151], v[178:179], s[14:15], v[132:133]
	v_add_f64_e32 v[90:91], v[152:153], v[90:91]
	v_add_f64_e32 v[74:75], v[166:167], v[74:75]
	v_fma_f64 v[132:133], v[178:179], s[14:15], -v[132:133]
	v_fma_f64 v[102:103], v[178:179], s[4:5], -v[102:103]
	v_add_f64_e32 v[94:95], v[138:139], v[94:95]
	v_add_f64_e32 v[68:69], v[28:29], v[68:69]
	;; [unrolled: 1-line block ×3, first 2 shown]
	v_fma_f64 v[124:125], v[178:179], s[22:23], -v[124:125]
	v_add_f64_e32 v[104:105], v[184:185], v[104:105]
	v_add_f64_e32 v[86:87], v[186:187], v[86:87]
	;; [unrolled: 1-line block ×12, first 2 shown]
	v_mad_u32_u24 v100, 0x88, v84, 0
	v_add_f64_e32 v[90:91], v[122:123], v[90:91]
	v_add_f64_e32 v[74:75], v[92:93], v[74:75]
	;; [unrolled: 1-line block ×12, first 2 shown]
	s_delay_alu instid0(VALU_DEP_1) | instskip(NEXT) | instid1(VALU_DEP_1)
	v_add_f64_e32 v[68:69], v[12:13], v[68:69]
	v_add_f64_e32 v[68:69], v[8:9], v[68:69]
	s_delay_alu instid0(VALU_DEP_1)
	v_add_f64_e32 v[68:69], v[4:5], v[68:69]
	ds_store_2addr_b64 v100, v[108:109], v[88:89] offset0:4 offset1:5
	ds_store_2addr_b64 v100, v[76:77], v[106:107] offset0:6 offset1:7
	;; [unrolled: 1-line block ×6, first 2 shown]
	ds_store_2addr_b64 v100, v[68:69], v[78:79] offset1:1
	ds_store_2addr_b64 v100, v[70:71], v[72:73] offset0:2 offset1:3
	ds_store_b64 v100, v[0:1] offset:128
.LBB0_15:
	s_wait_alu 0xfffe
	s_or_b32 exec_lo, exec_lo, s1
	v_lshl_add_u32 v86, v84, 3, 0
	global_wb scope:SCOPE_SE
	s_wait_loadcnt_dscnt 0x0
	s_barrier_signal -1
	s_barrier_wait -1
	global_inv scope:SCOPE_SE
	v_add_nc_u32_e32 v87, 0x400, v86
	v_add_nc_u32_e32 v88, 0xc00, v86
	ds_load_2addr_b64 v[68:71], v86 offset1:119
	ds_load_2addr_b64 v[76:79], v87 offset0:110 offset1:229
	ds_load_2addr_b64 v[72:75], v88 offset0:92 offset1:211
	ds_load_b64 v[0:1], v86 offset:5712
	global_wb scope:SCOPE_SE
	s_wait_dscnt 0x0
	s_barrier_signal -1
	s_barrier_wait -1
	global_inv scope:SCOPE_SE
	s_and_saveexec_b32 s33, s0
	s_cbranch_execz .LBB0_17
; %bb.16:
	v_add_f64_e32 v[89:90], v[66:67], v[2:3]
	v_add_f64_e64 v[4:5], v[64:65], -v[4:5]
	v_add_f64_e64 v[8:9], v[60:61], -v[8:9]
	s_mov_b32 s28, 0x5d8e7cdc
	s_mov_b32 s38, 0x2a9d6da3
	;; [unrolled: 1-line block ×13, first 2 shown]
	v_add_f64_e32 v[66:67], v[6:7], v[66:67]
	s_mov_b32 s41, 0xbfc7851a
	v_add_f64_e64 v[12:13], v[56:57], -v[12:13]
	v_add_f64_e64 v[16:17], v[52:53], -v[16:17]
	;; [unrolled: 1-line block ×3, first 2 shown]
	v_add_f64_e32 v[44:45], v[30:31], v[50:51]
	v_add_f64_e64 v[24:25], v[32:33], -v[24:25]
	s_mov_b32 s48, 0x7c9e640b
	s_mov_b32 s49, 0xbfeca52d
	v_add_f64_e64 v[28:29], v[48:49], -v[28:29]
	v_add_f64_e32 v[48:49], v[38:39], v[42:43]
	s_mov_b32 s0, 0x370991
	s_mov_b32 s4, 0x75d4884
	;; [unrolled: 1-line block ×11, first 2 shown]
	v_add_f64_e32 v[89:90], v[62:63], v[89:90]
	s_wait_alu 0xfffe
	v_mul_f64_e32 v[32:33], s[28:29], v[4:5]
	v_mul_f64_e32 v[52:53], s[36:37], v[4:5]
	;; [unrolled: 1-line block ×4, first 2 shown]
	s_mov_b32 s51, 0x3feec746
	s_mov_b32 s35, 0x3feca52d
	s_mov_b32 s45, 0x3fd71e95
	s_mov_b32 s54, s30
	s_mov_b32 s50, s22
	s_mov_b32 s34, s48
	s_mov_b32 s44, s28
	s_mov_b32 s19, 0xbfe348c8
	s_mov_b32 s21, 0xbfeb34fa
	s_mov_b32 s24, 0x7faef3
	s_mov_b32 s25, 0xbfef7484
	v_add_f64_e32 v[62:63], v[10:11], v[62:63]
	v_mul_f64_e32 v[93:94], s[38:39], v[8:9]
	v_mul_f64_e32 v[95:96], s[36:37], v[8:9]
	;; [unrolled: 1-line block ×4, first 2 shown]
	s_wait_alu 0xfffe
	v_mul_f64_e32 v[101:102], s[50:51], v[8:9]
	v_mul_f64_e32 v[103:104], s[34:35], v[8:9]
	s_mov_b32 s10, 0x2b2883cd
	s_mov_b32 s11, 0x3fdc86fa
	v_add_f64_e64 v[36:37], v[40:41], -v[36:37]
	v_add_f64_e32 v[40:41], v[26:27], v[34:35]
	s_mov_b32 s57, 0x3fc7851a
	s_mov_b32 s43, 0x3fe58eea
	;; [unrolled: 1-line block ×4, first 2 shown]
	v_mul_f64_e32 v[105:106], s[48:49], v[12:13]
	v_mul_f64_e32 v[107:108], s[26:27], v[12:13]
	s_wait_alu 0xfffe
	v_mul_f64_e32 v[109:110], s[56:57], v[12:13]
	v_mul_f64_e32 v[111:112], s[50:51], v[12:13]
	;; [unrolled: 1-line block ×5, first 2 shown]
	v_add_f64_e32 v[89:90], v[58:59], v[89:90]
	v_fma_f64 v[137:138], v[66:67], s[0:1], v[32:33]
	v_fma_f64 v[141:142], v[66:67], s[12:13], v[52:53]
	v_fma_f64 v[52:53], v[66:67], s[12:13], -v[52:53]
	v_fma_f64 v[143:144], v[66:67], s[14:15], v[56:57]
	v_fma_f64 v[149:150], v[66:67], s[24:25], v[91:92]
	v_fma_f64 v[91:92], v[66:67], s[24:25], -v[91:92]
	v_fma_f64 v[56:57], v[66:67], s[14:15], -v[56:57]
	;; [unrolled: 1-line block ×3, first 2 shown]
	v_add_f64_e32 v[58:59], v[14:15], v[58:59]
	v_mul_f64_e32 v[12:13], s[30:31], v[12:13]
	s_mov_b32 s53, 0x3fe9895b
	s_mov_b32 s52, s26
	v_mul_f64_e32 v[119:120], s[36:37], v[16:17]
	v_mul_f64_e32 v[121:122], s[40:41], v[16:17]
	;; [unrolled: 1-line block ×4, first 2 shown]
	v_fma_f64 v[159:160], v[62:63], s[4:5], v[93:94]
	v_fma_f64 v[93:94], v[62:63], s[4:5], -v[93:94]
	v_fma_f64 v[161:162], v[62:63], s[12:13], v[95:96]
	v_fma_f64 v[95:96], v[62:63], s[12:13], -v[95:96]
	;; [unrolled: 2-line block ×6, first 2 shown]
	v_mul_f64_e32 v[127:128], s[48:49], v[16:17]
	v_mul_f64_e32 v[129:130], s[30:31], v[16:17]
	s_wait_alu 0xfffe
	v_mul_f64_e32 v[131:132], s[52:53], v[16:17]
	v_mul_f64_e32 v[16:17], s[42:43], v[16:17]
	s_mov_b32 s47, 0x3fefdd0d
	s_mov_b32 s46, s36
	v_mul_f64_e32 v[133:134], s[22:23], v[20:21]
	v_mul_f64_e32 v[135:136], s[54:55], v[20:21]
	;; [unrolled: 1-line block ×3, first 2 shown]
	v_add_f64_e32 v[89:90], v[54:55], v[89:90]
	v_add_f64_e32 v[54:55], v[18:19], v[54:55]
	s_wait_alu 0xfffe
	v_mul_f64_e32 v[155:156], s[46:47], v[20:21]
	v_add_f64_e32 v[52:53], v[2:3], v[52:53]
	v_mul_f64_e32 v[157:158], s[28:29], v[20:21]
	v_mul_f64_e32 v[175:176], s[30:31], v[28:29]
	v_add_f64_e32 v[91:92], v[2:3], v[91:92]
	v_add_f64_e32 v[56:57], v[2:3], v[56:57]
	v_fma_f64 v[177:178], v[58:59], s[10:11], v[105:106]
	v_fma_f64 v[105:106], v[58:59], s[10:11], -v[105:106]
	v_fma_f64 v[179:180], v[58:59], s[18:19], v[107:108]
	v_fma_f64 v[107:108], v[58:59], s[18:19], -v[107:108]
	;; [unrolled: 2-line block ×8, first 2 shown]
	v_add_f64_e32 v[64:65], v[46:47], v[89:90]
	v_mul_f64_e32 v[89:90], s[30:31], v[4:5]
	v_add_f64_e32 v[46:47], v[22:23], v[46:47]
	v_add_f64_e32 v[52:53], v[99:100], v[52:53]
	s_delay_alu instid0(VALU_DEP_4)
	v_add_f64_e32 v[60:61], v[50:51], v[64:65]
	v_mul_f64_e32 v[50:51], s[38:39], v[4:5]
	v_mul_f64_e32 v[64:65], s[26:27], v[4:5]
	;; [unrolled: 1-line block ×3, first 2 shown]
	v_fma_f64 v[147:148], v[66:67], s[20:21], v[89:90]
	v_fma_f64 v[89:90], v[66:67], s[20:21], -v[89:90]
	v_add_f64_e32 v[52:53], v[111:112], v[52:53]
	v_mul_f64_e32 v[111:112], s[40:41], v[36:37]
	v_add_f64_e32 v[42:43], v[42:43], v[60:61]
	v_mul_f64_e32 v[60:61], s[54:55], v[8:9]
	v_mul_f64_e32 v[8:9], s[44:45], v[8:9]
	v_fma_f64 v[139:140], v[66:67], s[4:5], v[50:51]
	v_fma_f64 v[50:51], v[66:67], s[4:5], -v[50:51]
	v_fma_f64 v[145:146], v[66:67], s[18:19], v[64:65]
	v_fma_f64 v[64:65], v[66:67], s[18:19], -v[64:65]
	v_fma_f64 v[151:152], v[66:67], s[10:11], -v[4:5]
	v_fma_f64 v[4:5], v[66:67], s[10:11], v[4:5]
	v_add_f64_e32 v[89:90], v[2:3], v[89:90]
	v_mul_f64_e32 v[66:67], s[48:49], v[20:21]
	v_add_f64_e32 v[34:35], v[34:35], v[42:43]
	v_fma_f64 v[167:168], v[62:63], s[20:21], v[60:61]
	v_fma_f64 v[60:61], v[62:63], s[20:21], -v[60:61]
	v_fma_f64 v[173:174], v[62:63], s[0:1], v[8:9]
	v_fma_f64 v[8:9], v[62:63], s[0:1], -v[8:9]
	v_add_f64_e32 v[62:63], v[2:3], v[137:138]
	v_add_f64_e32 v[137:138], v[2:3], v[139:140]
	;; [unrolled: 1-line block ×13, first 2 shown]
	v_mul_f64_e32 v[42:43], s[42:43], v[20:21]
	v_mul_f64_e32 v[20:21], s[26:27], v[20:21]
	v_fma_f64 v[103:104], v[54:55], s[12:13], v[119:120]
	v_fma_f64 v[119:120], v[54:55], s[12:13], -v[119:120]
	v_mul_f64_e32 v[32:33], s[26:27], v[28:29]
	v_mul_f64_e32 v[151:152], s[28:29], v[28:29]
	v_add_f64_e32 v[26:27], v[26:27], v[34:35]
	v_mul_f64_e32 v[34:35], s[50:51], v[28:29]
	v_add_f64_e32 v[56:57], v[60:61], v[56:57]
	v_add_f64_e32 v[8:9], v[8:9], v[91:92]
	;; [unrolled: 1-line block ×14, first 2 shown]
	v_fma_f64 v[141:142], v[54:55], s[24:25], v[121:122]
	v_fma_f64 v[121:122], v[54:55], s[24:25], -v[121:122]
	v_fma_f64 v[143:144], v[54:55], s[14:15], v[123:124]
	v_fma_f64 v[123:124], v[54:55], s[14:15], -v[123:124]
	;; [unrolled: 2-line block ×7, first 2 shown]
	v_mul_f64_e32 v[91:92], s[38:39], v[28:29]
	v_mul_f64_e32 v[93:94], s[40:41], v[28:29]
	v_fma_f64 v[163:164], v[46:47], s[12:13], v[155:156]
	v_fma_f64 v[155:156], v[46:47], s[12:13], -v[155:156]
	v_fma_f64 v[165:166], v[46:47], s[0:1], v[157:158]
	v_fma_f64 v[157:158], v[46:47], s[0:1], -v[157:158]
	v_fma_f64 v[167:168], v[46:47], s[18:19], v[20:21]
	v_add_f64_e32 v[26:27], v[38:39], v[26:27]
	v_mul_f64_e32 v[38:39], s[46:47], v[28:29]
	v_add_f64_e32 v[56:57], v[113:114], v[56:57]
	v_mul_f64_e32 v[28:29], s[34:35], v[28:29]
	v_add_f64_e32 v[8:9], v[12:13], v[8:9]
	v_add_f64_e32 v[54:55], v[177:178], v[58:59]
	;; [unrolled: 1-line block ×14, first 2 shown]
	v_fma_f64 v[113:114], v[46:47], s[14:15], v[133:134]
	v_fma_f64 v[115:116], v[46:47], s[14:15], -v[133:134]
	v_fma_f64 v[117:118], v[46:47], s[20:21], v[135:136]
	v_fma_f64 v[133:134], v[46:47], s[20:21], -v[135:136]
	;; [unrolled: 2-line block ×5, first 2 shown]
	v_fma_f64 v[20:21], v[46:47], s[18:19], -v[20:21]
	v_add_f64_e32 v[52:53], v[125:126], v[52:53]
	v_mul_f64_e32 v[97:98], s[30:31], v[36:37]
	v_mul_f64_e32 v[89:90], s[36:37], v[36:37]
	;; [unrolled: 1-line block ×4, first 2 shown]
	v_fma_f64 v[125:126], v[44:45], s[0:1], -v[151:152]
	v_add_f64_e32 v[26:27], v[30:31], v[26:27]
	v_mul_f64_e32 v[30:31], s[34:35], v[36:37]
	v_add_f64_e32 v[8:9], v[16:17], v[8:9]
	v_add_f64_e32 v[46:47], v[103:104], v[54:55]
	;; [unrolled: 1-line block ×15, first 2 shown]
	v_fma_f64 v[119:120], v[44:45], s[18:19], v[32:33]
	v_fma_f64 v[32:33], v[44:45], s[18:19], -v[32:33]
	v_fma_f64 v[121:122], v[44:45], s[14:15], v[34:35]
	v_fma_f64 v[34:35], v[44:45], s[14:15], -v[34:35]
	v_fma_f64 v[123:124], v[44:45], s[0:1], v[151:152]
	v_fma_f64 v[127:128], v[44:45], s[20:21], v[175:176]
	v_fma_f64 v[129:130], v[44:45], s[20:21], -v[175:176]
	v_fma_f64 v[131:132], v[44:45], s[12:13], v[38:39]
	v_fma_f64 v[38:39], v[44:45], s[12:13], -v[38:39]
	;; [unrolled: 2-line block ×5, first 2 shown]
	v_add_f64_e32 v[52:53], v[66:67], v[52:53]
	v_mul_f64_e32 v[60:61], s[40:41], v[24:25]
	v_mul_f64_e32 v[103:104], s[44:45], v[24:25]
	;; [unrolled: 1-line block ×3, first 2 shown]
	v_add_f64_e32 v[22:23], v[22:23], v[26:27]
	v_mul_f64_e32 v[26:27], s[42:43], v[36:37]
	v_mul_f64_e32 v[36:37], s[22:23], v[36:37]
	v_add_f64_e32 v[8:9], v[20:21], v[8:9]
	v_add_f64_e32 v[44:45], v[113:114], v[46:47]
	;; [unrolled: 1-line block ×15, first 2 shown]
	v_mul_f64_e32 v[42:43], s[26:27], v[24:25]
	v_mul_f64_e32 v[56:57], s[34:35], v[24:25]
	;; [unrolled: 1-line block ×3, first 2 shown]
	v_fma_f64 v[101:102], v[48:49], s[20:21], v[97:98]
	v_fma_f64 v[97:98], v[48:49], s[20:21], -v[97:98]
	v_fma_f64 v[113:114], v[48:49], s[10:11], v[30:31]
	v_fma_f64 v[30:31], v[48:49], s[10:11], -v[30:31]
	;; [unrolled: 2-line block ×6, first 2 shown]
	v_add_f64_e32 v[18:19], v[18:19], v[22:23]
	v_mul_f64_e32 v[22:23], s[42:43], v[24:25]
	v_mul_f64_e32 v[24:25], s[46:47], v[24:25]
	v_fma_f64 v[137:138], v[48:49], s[4:5], v[26:27]
	v_fma_f64 v[26:27], v[48:49], s[4:5], -v[26:27]
	v_fma_f64 v[139:140], v[48:49], s[14:15], v[36:37]
	v_fma_f64 v[36:37], v[48:49], s[14:15], -v[36:37]
	v_add_f64_e32 v[44:45], v[119:120], v[44:45]
	v_add_f64_e32 v[46:47], v[121:122], v[46:47]
	;; [unrolled: 1-line block ×16, first 2 shown]
	v_fma_f64 v[28:29], v[40:41], s[24:25], -v[60:61]
	v_fma_f64 v[32:33], v[40:41], s[0:1], v[103:104]
	v_fma_f64 v[38:39], v[40:41], s[0:1], -v[103:104]
	v_fma_f64 v[66:67], v[40:41], s[20:21], -v[107:108]
	v_fma_f64 v[93:94], v[40:41], s[18:19], v[42:43]
	v_fma_f64 v[42:43], v[40:41], s[18:19], -v[42:43]
	v_fma_f64 v[95:96], v[40:41], s[10:11], v[56:57]
	;; [unrolled: 2-line block ×3, first 2 shown]
	v_fma_f64 v[99:100], v[40:41], s[14:15], -v[99:100]
	v_add_f64_e32 v[14:15], v[14:15], v[18:19]
	v_fma_f64 v[18:19], v[40:41], s[24:25], v[60:61]
	v_fma_f64 v[60:61], v[40:41], s[20:21], v[107:108]
	;; [unrolled: 1-line block ×3, first 2 shown]
	v_fma_f64 v[22:23], v[40:41], s[4:5], -v[22:23]
	v_fma_f64 v[107:108], v[40:41], s[12:13], v[24:25]
	v_fma_f64 v[24:25], v[40:41], s[12:13], -v[24:25]
	v_add_f64_e32 v[40:41], v[101:102], v[44:45]
	v_add_f64_e32 v[44:45], v[113:114], v[46:47]
	;; [unrolled: 1-line block ×34, first 2 shown]
	v_lshl_add_u32 v10, v84, 7, v86
	ds_store_2addr_b64 v10, v[30:31], v[32:33] offset0:4 offset1:5
	ds_store_2addr_b64 v10, v[34:35], v[38:39] offset0:6 offset1:7
	;; [unrolled: 1-line block ×7, first 2 shown]
	ds_store_2addr_b64 v10, v[6:7], v[14:15] offset1:1
	ds_store_b64 v10, v[2:3] offset:128
.LBB0_17:
	s_or_b32 exec_lo, exec_lo, s33
	v_and_b32_e32 v2, 0xff, v84
	global_wb scope:SCOPE_SE
	s_wait_dscnt 0x0
	s_barrier_signal -1
	s_barrier_wait -1
	global_inv scope:SCOPE_SE
	v_mul_lo_u16 v2, 0xf1, v2
	s_mov_b32 s24, 0x37e14327
	s_mov_b32 s26, 0xe976ee23
	;; [unrolled: 1-line block ×4, first 2 shown]
	v_lshrrev_b16 v52, 12, v2
	s_mov_b32 s0, 0x429ad128
	s_mov_b32 s4, 0x36b3c0b5
	;; [unrolled: 1-line block ×4, first 2 shown]
	v_mul_lo_u16 v2, v52, 17
	s_mov_b32 s10, 0xaaaaaaaa
	s_mov_b32 s20, 0xb247c609
	;; [unrolled: 1-line block ×4, first 2 shown]
	v_sub_nc_u16 v2, v84, v2
	s_mov_b32 s21, 0x3fd5d0dc
	s_mov_b32 s13, 0x3fe77f67
	;; [unrolled: 1-line block ×4, first 2 shown]
	v_and_b32_e32 v53, 0xff, v2
	s_wait_alu 0xfffe
	s_mov_b32 s18, s12
	s_mov_b32 s22, s20
	;; [unrolled: 1-line block ×4, first 2 shown]
	v_mul_u32_u24_e32 v2, 6, v53
	s_delay_alu instid0(VALU_DEP_1)
	v_lshlrev_b32_e32 v22, 4, v2
	s_clause 0x5
	global_load_b128 v[2:5], v22, s[8:9]
	global_load_b128 v[6:9], v22, s[8:9] offset:16
	global_load_b128 v[10:13], v22, s[8:9] offset:80
	;; [unrolled: 1-line block ×5, first 2 shown]
	ds_load_2addr_b64 v[26:29], v86 offset1:119
	ds_load_2addr_b64 v[30:33], v87 offset0:110 offset1:229
	ds_load_b64 v[38:39], v86 offset:5712
	ds_load_2addr_b64 v[34:37], v88 offset0:92 offset1:211
	global_wb scope:SCOPE_SE
	s_wait_loadcnt_dscnt 0x0
	s_barrier_signal -1
	s_barrier_wait -1
	global_inv scope:SCOPE_SE
	v_mul_f64_e32 v[40:41], v[28:29], v[4:5]
	v_mul_f64_e32 v[42:43], v[30:31], v[8:9]
	;; [unrolled: 1-line block ×12, first 2 shown]
	v_fma_f64 v[40:41], v[70:71], v[2:3], -v[40:41]
	v_fma_f64 v[42:43], v[76:77], v[6:7], -v[42:43]
	;; [unrolled: 1-line block ×4, first 2 shown]
	v_fma_f64 v[2:3], v[28:29], v[2:3], v[4:5]
	v_fma_f64 v[4:5], v[30:31], v[6:7], v[8:9]
	;; [unrolled: 1-line block ×4, first 2 shown]
	v_fma_f64 v[10:11], v[78:79], v[18:19], -v[48:49]
	v_fma_f64 v[12:13], v[32:33], v[18:19], v[20:21]
	v_fma_f64 v[14:15], v[72:73], v[22:23], -v[50:51]
	v_fma_f64 v[16:17], v[34:35], v[22:23], v[24:25]
	v_add_f64_e32 v[18:19], v[40:41], v[0:1]
	v_add_f64_e32 v[20:21], v[42:43], v[44:45]
	v_add_f64_e64 v[30:31], v[42:43], -v[44:45]
	v_add_f64_e64 v[0:1], v[40:41], -v[0:1]
	v_add_f64_e32 v[22:23], v[2:3], v[6:7]
	v_add_f64_e32 v[24:25], v[4:5], v[8:9]
	v_add_f64_e64 v[4:5], v[4:5], -v[8:9]
	v_add_f64_e64 v[2:3], v[2:3], -v[6:7]
	v_add_f64_e32 v[8:9], v[10:11], v[14:15]
	v_add_f64_e64 v[28:29], v[16:17], -v[12:13]
	v_add_f64_e32 v[12:13], v[12:13], v[16:17]
	;; [unrolled: 2-line block ×4, first 2 shown]
	v_add_f64_e64 v[34:35], v[4:5], -v[2:3]
	v_add_f64_e64 v[16:17], v[18:19], -v[8:9]
	;; [unrolled: 1-line block ×5, first 2 shown]
	v_add_f64_e32 v[4:5], v[28:29], v[4:5]
	v_add_f64_e64 v[28:29], v[2:3], -v[28:29]
	v_add_f64_e64 v[18:19], v[20:21], -v[18:19]
	v_add_f64_e32 v[30:31], v[10:11], v[30:31]
	v_add_f64_e64 v[10:11], v[0:1], -v[10:11]
	v_add_f64_e64 v[22:23], v[24:25], -v[22:23]
	v_add_f64_e32 v[6:7], v[8:9], v[6:7]
	v_add_f64_e64 v[8:9], v[8:9], -v[20:21]
	v_add_f64_e32 v[14:15], v[12:13], v[14:15]
	v_add_f64_e64 v[12:13], v[12:13], -v[24:25]
	v_mul_f64_e32 v[42:43], s[0:1], v[34:35]
	v_mul_f64_e32 v[16:17], s[24:25], v[16:17]
	;; [unrolled: 1-line block ×6, first 2 shown]
	v_add_f64_e32 v[2:3], v[4:5], v[2:3]
	v_add_f64_e32 v[0:1], v[30:31], v[0:1]
	;; [unrolled: 1-line block ×3, first 2 shown]
	v_mul_f64_e32 v[20:21], s[4:5], v[8:9]
	v_add_f64_e32 v[26:27], v[26:27], v[14:15]
	v_mul_f64_e32 v[46:47], s[4:5], v[12:13]
	v_fma_f64 v[4:5], v[8:9], s[4:5], v[16:17]
	v_fma_f64 v[8:9], v[28:29], s[20:21], v[32:33]
	v_fma_f64 v[32:33], v[34:35], s[0:1], -v[32:33]
	s_wait_alu 0xfffe
	v_fma_f64 v[28:29], v[28:29], s[22:23], -v[42:43]
	v_fma_f64 v[16:17], v[18:19], s[18:19], -v[16:17]
	v_fma_f64 v[12:13], v[12:13], s[4:5], v[36:37]
	v_fma_f64 v[30:31], v[40:41], s[0:1], -v[38:39]
	v_fma_f64 v[6:7], v[6:7], s[10:11], v[44:45]
	;; [unrolled: 2-line block ×4, first 2 shown]
	v_fma_f64 v[24:25], v[22:23], s[18:19], -v[36:37]
	v_fma_f64 v[22:23], v[22:23], s[12:13], -v[46:47]
	v_fma_f64 v[8:9], v[2:3], s[14:15], v[8:9]
	v_fma_f64 v[32:33], v[2:3], s[14:15], v[32:33]
	;; [unrolled: 1-line block ×3, first 2 shown]
	v_add_f64_e32 v[4:5], v[4:5], v[6:7]
	v_add_f64_e32 v[16:17], v[16:17], v[6:7]
	;; [unrolled: 1-line block ×3, first 2 shown]
	v_fma_f64 v[18:19], v[0:1], s[14:15], v[20:21]
	v_fma_f64 v[20:21], v[0:1], s[14:15], v[30:31]
	;; [unrolled: 1-line block ×3, first 2 shown]
	v_add_f64_e32 v[10:11], v[12:13], v[14:15]
	v_add_f64_e32 v[12:13], v[24:25], v[14:15]
	;; [unrolled: 1-line block ×5, first 2 shown]
	v_add_f64_e64 v[28:29], v[6:7], -v[32:33]
	v_add_f64_e32 v[6:7], v[32:33], v[6:7]
	v_add_f64_e64 v[2:3], v[16:17], -v[2:3]
	v_add_f64_e64 v[4:5], v[4:5], -v[8:9]
	;; [unrolled: 1-line block ×3, first 2 shown]
	v_and_b32_e32 v8, 0xffff, v52
	v_add_f64_e64 v[30:31], v[12:13], -v[0:1]
	v_add_f64_e32 v[32:33], v[20:21], v[14:15]
	v_add_f64_e64 v[14:15], v[14:15], -v[20:21]
	v_add_f64_e32 v[20:21], v[0:1], v[12:13]
	v_add_f64_e32 v[18:19], v[18:19], v[10:11]
	v_mul_u32_u24_e32 v0, 0x3b8, v8
	v_lshlrev_b32_e32 v1, 3, v53
	s_delay_alu instid0(VALU_DEP_1)
	v_add3_u32 v34, 0, v0, v1
	ds_store_2addr_b64 v34, v[44:45], v[22:23] offset1:17
	ds_store_2addr_b64 v34, v[24:25], v[28:29] offset0:34 offset1:51
	ds_store_2addr_b64 v34, v[6:7], v[2:3] offset0:68 offset1:85
	ds_store_b64 v34, v[4:5] offset:816
	global_wb scope:SCOPE_SE
	s_wait_dscnt 0x0
	s_barrier_signal -1
	s_barrier_wait -1
	global_inv scope:SCOPE_SE
	ds_load_2addr_b64 v[0:3], v86 offset1:119
	ds_load_2addr_b64 v[4:7], v87 offset0:110 offset1:229
	ds_load_2addr_b64 v[8:11], v88 offset0:92 offset1:211
	ds_load_b64 v[12:13], v86 offset:5712
	global_wb scope:SCOPE_SE
	s_wait_dscnt 0x0
	s_barrier_signal -1
	s_barrier_wait -1
	global_inv scope:SCOPE_SE
	ds_store_2addr_b64 v34, v[26:27], v[16:17] offset1:17
	ds_store_2addr_b64 v34, v[30:31], v[32:33] offset0:34 offset1:51
	ds_store_2addr_b64 v34, v[14:15], v[20:21] offset0:68 offset1:85
	ds_store_b64 v34, v[18:19] offset:816
	global_wb scope:SCOPE_SE
	s_wait_dscnt 0x0
	s_barrier_signal -1
	s_barrier_wait -1
	global_inv scope:SCOPE_SE
	s_and_saveexec_b32 s28, vcc_lo
	s_cbranch_execz .LBB0_19
; %bb.18:
	v_mul_u32_u24_e32 v14, 6, v84
	v_add_nc_u32_e32 v38, 0x400, v86
	v_add_nc_u32_e32 v42, 0xc00, v86
	v_add_nc_u32_e32 v64, 0x2ca, v85
	s_delay_alu instid0(VALU_DEP_4)
	v_lshlrev_b32_e32 v34, 4, v14
	s_clause 0x5
	global_load_b128 v[14:17], v34, s[8:9] offset:1648
	global_load_b128 v[18:21], v34, s[8:9] offset:1696
	global_load_b128 v[22:25], v34, s[8:9] offset:1632
	global_load_b128 v[26:29], v34, s[8:9] offset:1712
	global_load_b128 v[30:33], v34, s[8:9] offset:1680
	global_load_b128 v[34:37], v34, s[8:9] offset:1664
	ds_load_2addr_b64 v[38:41], v38 offset0:110 offset1:229
	ds_load_2addr_b64 v[42:45], v42 offset0:92 offset1:211
	ds_load_2addr_b64 v[46:49], v86 offset1:119
	ds_load_b64 v[50:51], v86 offset:5712
	s_wait_loadcnt 0x5
	v_mul_f64_e32 v[52:53], v[4:5], v[16:17]
	s_wait_loadcnt 0x4
	v_mul_f64_e32 v[54:55], v[10:11], v[20:21]
	;; [unrolled: 2-line block ×4, first 2 shown]
	s_wait_dscnt 0x3
	v_mul_f64_e32 v[16:17], v[38:39], v[16:17]
	s_wait_dscnt 0x2
	v_mul_f64_e32 v[20:21], v[44:45], v[20:21]
	s_wait_dscnt 0x1
	v_mul_f64_e32 v[24:25], v[48:49], v[24:25]
	s_wait_dscnt 0x0
	v_mul_f64_e32 v[28:29], v[50:51], v[28:29]
	s_wait_loadcnt 0x1
	v_mul_f64_e32 v[60:61], v[42:43], v[32:33]
	s_wait_loadcnt 0x0
	v_mul_f64_e32 v[62:63], v[40:41], v[36:37]
	v_mul_f64_e32 v[36:37], v[6:7], v[36:37]
	;; [unrolled: 1-line block ×3, first 2 shown]
	v_fma_f64 v[38:39], v[14:15], v[38:39], v[52:53]
	v_fma_f64 v[44:45], v[18:19], v[44:45], v[54:55]
	;; [unrolled: 1-line block ×4, first 2 shown]
	v_fma_f64 v[4:5], v[4:5], v[14:15], -v[16:17]
	v_fma_f64 v[10:11], v[10:11], v[18:19], -v[20:21]
	v_fma_f64 v[2:3], v[2:3], v[22:23], -v[24:25]
	v_fma_f64 v[12:13], v[12:13], v[26:27], -v[28:29]
	v_fma_f64 v[8:9], v[8:9], v[30:31], -v[60:61]
	v_fma_f64 v[6:7], v[6:7], v[34:35], -v[62:63]
	v_fma_f64 v[14:15], v[34:35], v[40:41], v[36:37]
	v_fma_f64 v[16:17], v[30:31], v[42:43], v[32:33]
	v_mul_lo_u32 v54, s3, v82
	v_mul_lo_u32 v55, s2, v83
	v_add_nc_u32_e32 v56, 0x77, v85
	v_add_nc_u32_e32 v62, 0x1dc, v85
	;; [unrolled: 1-line block ×3, first 2 shown]
	v_lshlrev_b64_e32 v[52:53], 4, v[80:81]
	v_add_f64_e32 v[18:19], v[38:39], v[44:45]
	v_add_f64_e32 v[20:21], v[48:49], v[50:51]
	v_add_f64_e32 v[22:23], v[4:5], v[10:11]
	v_add_f64_e64 v[4:5], v[4:5], -v[10:11]
	v_add_f64_e32 v[24:25], v[2:3], v[12:13]
	v_add_f64_e64 v[26:27], v[8:9], -v[6:7]
	v_add_f64_e32 v[6:7], v[8:9], v[6:7]
	;; [unrolled: 2-line block ×3, first 2 shown]
	v_add_f64_e64 v[12:13], v[16:17], -v[14:15]
	v_add_f64_e64 v[14:15], v[38:39], -v[44:45]
	v_add_f64_e64 v[16:17], v[48:49], -v[50:51]
	v_mad_co_u64_u32 v[48:49], null, s2, v82, 0
	v_mad_co_u64_u32 v[50:51], null, s16, v85, 0
	v_add_nc_u32_e32 v61, 0x165, v85
	s_delay_alu instid0(VALU_DEP_3)
	v_add3_u32 v49, v49, v55, v54
	v_mad_co_u64_u32 v[54:55], null, s16, v64, 0
	v_add_f64_e32 v[2:3], v[18:19], v[20:21]
	v_add_f64_e32 v[28:29], v[22:23], v[24:25]
	v_add_f64_e64 v[30:31], v[26:27], -v[4:5]
	v_add_f64_e64 v[34:35], v[24:25], -v[6:7]
	;; [unrolled: 1-line block ×4, first 2 shown]
	v_add_f64_e32 v[4:5], v[26:27], v[4:5]
	v_add_f64_e64 v[40:41], v[12:13], -v[14:15]
	v_add_f64_e64 v[42:43], v[14:15], -v[16:17]
	;; [unrolled: 1-line block ×3, first 2 shown]
	v_add_f64_e32 v[14:15], v[12:13], v[14:15]
	v_add_f64_e64 v[12:13], v[16:17], -v[12:13]
	v_add_f64_e32 v[38:39], v[10:11], v[2:3]
	v_add_f64_e64 v[10:11], v[10:11], -v[18:19]
	v_add_f64_e64 v[18:19], v[18:19], -v[20:21]
	v_add_f64_e32 v[28:29], v[6:7], v[28:29]
	v_add_f64_e64 v[6:7], v[6:7], -v[22:23]
	v_mul_f64_e32 v[30:31], s[26:27], v[30:31]
	v_mul_f64_e32 v[34:35], s[24:25], v[34:35]
	;; [unrolled: 1-line block ×4, first 2 shown]
	v_add_f64_e64 v[22:23], v[22:23], -v[24:25]
	v_mul_f64_e32 v[40:41], s[26:27], v[40:41]
	v_add_f64_e32 v[4:5], v[4:5], v[8:9]
	v_add_f64_e32 v[8:9], v[14:15], v[16:17]
	;; [unrolled: 1-line block ×3, first 2 shown]
	v_mul_f64_e32 v[20:21], s[4:5], v[10:11]
	v_mul_f64_e32 v[46:47], s[0:1], v[42:43]
	v_add_f64_e32 v[0:1], v[0:1], v[28:29]
	v_mul_f64_e32 v[24:25], s[4:5], v[6:7]
	v_fma_f64 v[14:15], v[26:27], s[20:21], v[30:31]
	v_fma_f64 v[6:7], v[6:7], s[4:5], v[34:35]
	v_fma_f64 v[16:17], v[26:27], s[22:23], -v[44:45]
	v_fma_f64 v[26:27], v[36:37], s[0:1], -v[30:31]
	v_fma_f64 v[10:11], v[10:11], s[4:5], v[32:33]
	v_fma_f64 v[32:33], v[18:19], s[18:19], -v[32:33]
	v_fma_f64 v[36:37], v[42:43], s[0:1], -v[40:41]
	;; [unrolled: 1-line block ×3, first 2 shown]
	v_mad_co_u64_u32 v[42:43], null, s16, v62, 0
	v_mad_co_u64_u32 v[44:45], null, s16, v63, 0
	v_fma_f64 v[30:31], v[38:39], s[10:11], v[2:3]
	v_fma_f64 v[18:19], v[18:19], s[12:13], -v[20:21]
	v_fma_f64 v[20:21], v[12:13], s[20:21], v[40:41]
	v_fma_f64 v[12:13], v[12:13], s[22:23], -v[46:47]
	v_mov_b32_e32 v46, v51
	v_fma_f64 v[28:29], v[28:29], s[10:11], v[0:1]
	v_fma_f64 v[22:23], v[22:23], s[12:13], -v[24:25]
	v_mad_co_u64_u32 v[24:25], null, s16, v56, 0
	s_delay_alu instid0(VALU_DEP_4)
	v_mad_co_u64_u32 v[46:47], null, s17, v85, v[46:47]
	v_lshlrev_b64_e32 v[47:48], 4, v[48:49]
	v_mov_b32_e32 v49, v55
	v_fma_f64 v[16:17], v[4:5], s[14:15], v[16:17]
	v_mad_co_u64_u32 v[40:41], null, s16, v61, 0
	v_mad_co_u64_u32 v[55:56], null, s17, v56, v[25:26]
	v_fma_f64 v[56:57], v[4:5], s[14:15], v[14:15]
	v_fma_f64 v[4:5], v[4:5], s[14:15], v[26:27]
	v_mad_co_u64_u32 v[14:15], null, s17, v62, v[43:44]
	v_mov_b32_e32 v51, v46
	v_mov_b32_e32 v25, v55
	s_delay_alu instid0(VALU_DEP_3)
	v_mov_b32_e32 v43, v14
	v_add_f64_e32 v[26:27], v[10:11], v[30:31]
	v_add_f64_e32 v[32:33], v[32:33], v[30:31]
	;; [unrolled: 1-line block ×3, first 2 shown]
	v_fma_f64 v[30:31], v[8:9], s[14:15], v[20:21]
	v_fma_f64 v[58:59], v[8:9], s[14:15], v[12:13]
	;; [unrolled: 1-line block ×3, first 2 shown]
	v_add_f64_e32 v[36:37], v[6:7], v[28:29]
	v_add_f64_e32 v[34:35], v[34:35], v[28:29]
	;; [unrolled: 1-line block ×3, first 2 shown]
	v_mad_co_u64_u32 v[10:11], null, s17, v61, v[41:42]
	v_add_nc_u32_e32 v60, 0xee, v85
	v_mad_co_u64_u32 v[20:21], null, s17, v63, v[45:46]
	v_lshlrev_b64_e32 v[28:29], 4, v[50:51]
	s_delay_alu instid0(VALU_DEP_4) | instskip(NEXT) | instid1(VALU_DEP_4)
	v_mov_b32_e32 v41, v10
	v_mad_co_u64_u32 v[38:39], null, s16, v60, 0
	s_delay_alu instid0(VALU_DEP_4) | instskip(SKIP_1) | instid1(VALU_DEP_3)
	v_mov_b32_e32 v45, v20
	v_mad_co_u64_u32 v[21:22], null, s17, v64, v[49:50]
	v_mad_co_u64_u32 v[6:7], null, s17, v60, v[39:40]
	v_add_co_u32 v7, vcc_lo, s6, v47
	s_wait_alu 0xfffd
	v_add_co_ci_u32_e32 v11, vcc_lo, s7, v48, vcc_lo
	v_lshlrev_b64_e32 v[46:47], 4, v[24:25]
	s_delay_alu instid0(VALU_DEP_3)
	v_add_co_u32 v48, vcc_lo, v7, v52
	v_mov_b32_e32 v39, v6
	v_mov_b32_e32 v55, v21
	s_wait_alu 0xfffd
	v_add_co_ci_u32_e32 v49, vcc_lo, v11, v53, vcc_lo
	v_add_f64_e32 v[6:7], v[56:57], v[26:27]
	v_add_f64_e64 v[26:27], v[26:27], -v[56:57]
	v_add_f64_e64 v[22:23], v[32:33], -v[16:17]
	v_add_f64_e32 v[10:11], v[16:17], v[32:33]
	v_add_f64_e64 v[14:15], v[18:19], -v[4:5]
	v_add_f64_e32 v[24:25], v[30:31], v[36:37]
	v_add_f64_e32 v[20:21], v[58:59], v[34:35]
	;; [unrolled: 1-line block ×3, first 2 shown]
	v_add_f64_e64 v[16:17], v[12:13], -v[8:9]
	v_add_f64_e32 v[12:13], v[8:9], v[12:13]
	v_add_f64_e64 v[8:9], v[34:35], -v[58:59]
	v_add_f64_e64 v[4:5], v[36:37], -v[30:31]
	v_lshlrev_b64_e32 v[38:39], 4, v[38:39]
	v_add_co_u32 v28, vcc_lo, v48, v28
	s_wait_alu 0xfffd
	v_add_co_ci_u32_e32 v29, vcc_lo, v49, v29, vcc_lo
	v_lshlrev_b64_e32 v[40:41], 4, v[40:41]
	v_add_co_u32 v36, vcc_lo, v48, v46
	s_wait_alu 0xfffd
	v_add_co_ci_u32_e32 v37, vcc_lo, v49, v47, vcc_lo
	;; [unrolled: 4-line block ×5, first 2 shown]
	v_add_co_u32 v32, vcc_lo, v48, v32
	s_wait_alu 0xfffd
	v_add_co_ci_u32_e32 v33, vcc_lo, v49, v33, vcc_lo
	v_add_co_u32 v34, vcc_lo, v48, v34
	s_wait_alu 0xfffd
	v_add_co_ci_u32_e32 v35, vcc_lo, v49, v35, vcc_lo
	s_clause 0x6
	global_store_b128 v[28:29], v[0:3], off
	global_store_b128 v[36:37], v[24:27], off
	;; [unrolled: 1-line block ×7, first 2 shown]
.LBB0_19:
	s_nop 0
	s_sendmsg sendmsg(MSG_DEALLOC_VGPRS)
	s_endpgm
	.section	.rodata,"a",@progbits
	.p2align	6, 0x0
	.amdhsa_kernel fft_rtc_fwd_len833_factors_17_7_7_wgs_119_tpt_119_halfLds_dp_op_CI_CI_sbrr_dirReg
		.amdhsa_group_segment_fixed_size 0
		.amdhsa_private_segment_fixed_size 0
		.amdhsa_kernarg_size 104
		.amdhsa_user_sgpr_count 2
		.amdhsa_user_sgpr_dispatch_ptr 0
		.amdhsa_user_sgpr_queue_ptr 0
		.amdhsa_user_sgpr_kernarg_segment_ptr 1
		.amdhsa_user_sgpr_dispatch_id 0
		.amdhsa_user_sgpr_private_segment_size 0
		.amdhsa_wavefront_size32 1
		.amdhsa_uses_dynamic_stack 0
		.amdhsa_enable_private_segment 0
		.amdhsa_system_sgpr_workgroup_id_x 1
		.amdhsa_system_sgpr_workgroup_id_y 0
		.amdhsa_system_sgpr_workgroup_id_z 0
		.amdhsa_system_sgpr_workgroup_info 0
		.amdhsa_system_vgpr_workitem_id 0
		.amdhsa_next_free_vgpr 193
		.amdhsa_next_free_sgpr 60
		.amdhsa_reserve_vcc 1
		.amdhsa_float_round_mode_32 0
		.amdhsa_float_round_mode_16_64 0
		.amdhsa_float_denorm_mode_32 3
		.amdhsa_float_denorm_mode_16_64 3
		.amdhsa_fp16_overflow 0
		.amdhsa_workgroup_processor_mode 1
		.amdhsa_memory_ordered 1
		.amdhsa_forward_progress 0
		.amdhsa_round_robin_scheduling 0
		.amdhsa_exception_fp_ieee_invalid_op 0
		.amdhsa_exception_fp_denorm_src 0
		.amdhsa_exception_fp_ieee_div_zero 0
		.amdhsa_exception_fp_ieee_overflow 0
		.amdhsa_exception_fp_ieee_underflow 0
		.amdhsa_exception_fp_ieee_inexact 0
		.amdhsa_exception_int_div_zero 0
	.end_amdhsa_kernel
	.text
.Lfunc_end0:
	.size	fft_rtc_fwd_len833_factors_17_7_7_wgs_119_tpt_119_halfLds_dp_op_CI_CI_sbrr_dirReg, .Lfunc_end0-fft_rtc_fwd_len833_factors_17_7_7_wgs_119_tpt_119_halfLds_dp_op_CI_CI_sbrr_dirReg
                                        ; -- End function
	.section	.AMDGPU.csdata,"",@progbits
; Kernel info:
; codeLenInByte = 10312
; NumSgprs: 62
; NumVgprs: 193
; ScratchSize: 0
; MemoryBound: 1
; FloatMode: 240
; IeeeMode: 1
; LDSByteSize: 0 bytes/workgroup (compile time only)
; SGPRBlocks: 7
; VGPRBlocks: 24
; NumSGPRsForWavesPerEU: 62
; NumVGPRsForWavesPerEU: 193
; Occupancy: 7
; WaveLimiterHint : 1
; COMPUTE_PGM_RSRC2:SCRATCH_EN: 0
; COMPUTE_PGM_RSRC2:USER_SGPR: 2
; COMPUTE_PGM_RSRC2:TRAP_HANDLER: 0
; COMPUTE_PGM_RSRC2:TGID_X_EN: 1
; COMPUTE_PGM_RSRC2:TGID_Y_EN: 0
; COMPUTE_PGM_RSRC2:TGID_Z_EN: 0
; COMPUTE_PGM_RSRC2:TIDIG_COMP_CNT: 0
	.text
	.p2alignl 7, 3214868480
	.fill 96, 4, 3214868480
	.type	__hip_cuid_7321cd02db337b4f,@object ; @__hip_cuid_7321cd02db337b4f
	.section	.bss,"aw",@nobits
	.globl	__hip_cuid_7321cd02db337b4f
__hip_cuid_7321cd02db337b4f:
	.byte	0                               ; 0x0
	.size	__hip_cuid_7321cd02db337b4f, 1

	.ident	"AMD clang version 19.0.0git (https://github.com/RadeonOpenCompute/llvm-project roc-6.4.0 25133 c7fe45cf4b819c5991fe208aaa96edf142730f1d)"
	.section	".note.GNU-stack","",@progbits
	.addrsig
	.addrsig_sym __hip_cuid_7321cd02db337b4f
	.amdgpu_metadata
---
amdhsa.kernels:
  - .args:
      - .actual_access:  read_only
        .address_space:  global
        .offset:         0
        .size:           8
        .value_kind:     global_buffer
      - .offset:         8
        .size:           8
        .value_kind:     by_value
      - .actual_access:  read_only
        .address_space:  global
        .offset:         16
        .size:           8
        .value_kind:     global_buffer
      - .actual_access:  read_only
        .address_space:  global
        .offset:         24
        .size:           8
        .value_kind:     global_buffer
      - .actual_access:  read_only
        .address_space:  global
        .offset:         32
        .size:           8
        .value_kind:     global_buffer
      - .offset:         40
        .size:           8
        .value_kind:     by_value
      - .actual_access:  read_only
        .address_space:  global
        .offset:         48
        .size:           8
        .value_kind:     global_buffer
      - .actual_access:  read_only
        .address_space:  global
        .offset:         56
        .size:           8
        .value_kind:     global_buffer
      - .offset:         64
        .size:           4
        .value_kind:     by_value
      - .actual_access:  read_only
        .address_space:  global
        .offset:         72
        .size:           8
        .value_kind:     global_buffer
      - .actual_access:  read_only
        .address_space:  global
        .offset:         80
        .size:           8
        .value_kind:     global_buffer
      - .actual_access:  read_only
        .address_space:  global
        .offset:         88
        .size:           8
        .value_kind:     global_buffer
      - .actual_access:  write_only
        .address_space:  global
        .offset:         96
        .size:           8
        .value_kind:     global_buffer
    .group_segment_fixed_size: 0
    .kernarg_segment_align: 8
    .kernarg_segment_size: 104
    .language:       OpenCL C
    .language_version:
      - 2
      - 0
    .max_flat_workgroup_size: 119
    .name:           fft_rtc_fwd_len833_factors_17_7_7_wgs_119_tpt_119_halfLds_dp_op_CI_CI_sbrr_dirReg
    .private_segment_fixed_size: 0
    .sgpr_count:     62
    .sgpr_spill_count: 0
    .symbol:         fft_rtc_fwd_len833_factors_17_7_7_wgs_119_tpt_119_halfLds_dp_op_CI_CI_sbrr_dirReg.kd
    .uniform_work_group_size: 1
    .uses_dynamic_stack: false
    .vgpr_count:     193
    .vgpr_spill_count: 0
    .wavefront_size: 32
    .workgroup_processor_mode: 1
amdhsa.target:   amdgcn-amd-amdhsa--gfx1201
amdhsa.version:
  - 1
  - 2
...

	.end_amdgpu_metadata
